;; amdgpu-corpus repo=ROCm/rocFFT kind=compiled arch=gfx1201 opt=O3
	.text
	.amdgcn_target "amdgcn-amd-amdhsa--gfx1201"
	.amdhsa_code_object_version 6
	.protected	fft_rtc_back_len1716_factors_13_2_6_11_wgs_156_tpt_156_half_op_CI_CI_sbrr_dirReg ; -- Begin function fft_rtc_back_len1716_factors_13_2_6_11_wgs_156_tpt_156_half_op_CI_CI_sbrr_dirReg
	.globl	fft_rtc_back_len1716_factors_13_2_6_11_wgs_156_tpt_156_half_op_CI_CI_sbrr_dirReg
	.p2align	8
	.type	fft_rtc_back_len1716_factors_13_2_6_11_wgs_156_tpt_156_half_op_CI_CI_sbrr_dirReg,@function
fft_rtc_back_len1716_factors_13_2_6_11_wgs_156_tpt_156_half_op_CI_CI_sbrr_dirReg: ; @fft_rtc_back_len1716_factors_13_2_6_11_wgs_156_tpt_156_half_op_CI_CI_sbrr_dirReg
; %bb.0:
	s_clause 0x2
	s_load_b128 s[12:15], s[0:1], 0x18
	s_load_b128 s[8:11], s[0:1], 0x0
	;; [unrolled: 1-line block ×3, first 2 shown]
	v_mul_u32_u24_e32 v1, 0x1a5, v0
	v_mov_b32_e32 v3, 0
	s_wait_kmcnt 0x0
	s_load_b64 s[18:19], s[12:13], 0x0
	s_load_b64 s[16:17], s[14:15], 0x0
	v_lshrrev_b32_e32 v1, 16, v1
	v_cmp_lt_u64_e64 s2, s[10:11], 2
	s_delay_alu instid0(VALU_DEP_2)
	v_add_nc_u32_e32 v5, ttmp9, v1
	v_mov_b32_e32 v1, 0
	v_mov_b32_e32 v2, 0
	;; [unrolled: 1-line block ×3, first 2 shown]
	s_and_b32 vcc_lo, exec_lo, s2
	s_cbranch_vccnz .LBB0_8
; %bb.1:
	s_load_b64 s[2:3], s[0:1], 0x10
	v_mov_b32_e32 v1, 0
	v_mov_b32_e32 v2, 0
	s_add_nc_u64 s[20:21], s[14:15], 8
	s_add_nc_u64 s[22:23], s[12:13], 8
	s_mov_b64 s[24:25], 1
	s_delay_alu instid0(VALU_DEP_1)
	v_dual_mov_b32 v9, v2 :: v_dual_mov_b32 v8, v1
	s_wait_kmcnt 0x0
	s_add_nc_u64 s[26:27], s[2:3], 8
	s_mov_b32 s3, 0
.LBB0_2:                                ; =>This Inner Loop Header: Depth=1
	s_load_b64 s[28:29], s[26:27], 0x0
                                        ; implicit-def: $vgpr10_vgpr11
	s_mov_b32 s2, exec_lo
	s_wait_kmcnt 0x0
	v_or_b32_e32 v4, s29, v6
	s_delay_alu instid0(VALU_DEP_1)
	v_cmpx_ne_u64_e32 0, v[3:4]
	s_wait_alu 0xfffe
	s_xor_b32 s30, exec_lo, s2
	s_cbranch_execz .LBB0_4
; %bb.3:                                ;   in Loop: Header=BB0_2 Depth=1
	s_cvt_f32_u32 s2, s28
	s_cvt_f32_u32 s31, s29
	s_sub_nc_u64 s[36:37], 0, s[28:29]
	s_wait_alu 0xfffe
	s_delay_alu instid0(SALU_CYCLE_1) | instskip(SKIP_1) | instid1(SALU_CYCLE_2)
	s_fmamk_f32 s2, s31, 0x4f800000, s2
	s_wait_alu 0xfffe
	v_s_rcp_f32 s2, s2
	s_delay_alu instid0(TRANS32_DEP_1) | instskip(SKIP_1) | instid1(SALU_CYCLE_2)
	s_mul_f32 s2, s2, 0x5f7ffffc
	s_wait_alu 0xfffe
	s_mul_f32 s31, s2, 0x2f800000
	s_wait_alu 0xfffe
	s_delay_alu instid0(SALU_CYCLE_2) | instskip(SKIP_1) | instid1(SALU_CYCLE_2)
	s_trunc_f32 s31, s31
	s_wait_alu 0xfffe
	s_fmamk_f32 s2, s31, 0xcf800000, s2
	s_cvt_u32_f32 s35, s31
	s_wait_alu 0xfffe
	s_delay_alu instid0(SALU_CYCLE_1) | instskip(SKIP_1) | instid1(SALU_CYCLE_2)
	s_cvt_u32_f32 s34, s2
	s_wait_alu 0xfffe
	s_mul_u64 s[38:39], s[36:37], s[34:35]
	s_wait_alu 0xfffe
	s_mul_hi_u32 s41, s34, s39
	s_mul_i32 s40, s34, s39
	s_mul_hi_u32 s2, s34, s38
	s_mul_i32 s33, s35, s38
	s_wait_alu 0xfffe
	s_add_nc_u64 s[40:41], s[2:3], s[40:41]
	s_mul_hi_u32 s31, s35, s38
	s_mul_hi_u32 s42, s35, s39
	s_add_co_u32 s2, s40, s33
	s_wait_alu 0xfffe
	s_add_co_ci_u32 s2, s41, s31
	s_mul_i32 s38, s35, s39
	s_add_co_ci_u32 s39, s42, 0
	s_wait_alu 0xfffe
	s_add_nc_u64 s[38:39], s[2:3], s[38:39]
	s_wait_alu 0xfffe
	v_add_co_u32 v4, s2, s34, s38
	s_delay_alu instid0(VALU_DEP_1) | instskip(SKIP_1) | instid1(VALU_DEP_1)
	s_cmp_lg_u32 s2, 0
	s_add_co_ci_u32 s35, s35, s39
	v_readfirstlane_b32 s34, v4
	s_wait_alu 0xfffe
	s_delay_alu instid0(VALU_DEP_1)
	s_mul_u64 s[36:37], s[36:37], s[34:35]
	s_wait_alu 0xfffe
	s_mul_hi_u32 s39, s34, s37
	s_mul_i32 s38, s34, s37
	s_mul_hi_u32 s2, s34, s36
	s_mul_i32 s33, s35, s36
	s_wait_alu 0xfffe
	s_add_nc_u64 s[38:39], s[2:3], s[38:39]
	s_mul_hi_u32 s31, s35, s36
	s_mul_hi_u32 s34, s35, s37
	s_wait_alu 0xfffe
	s_add_co_u32 s2, s38, s33
	s_add_co_ci_u32 s2, s39, s31
	s_mul_i32 s36, s35, s37
	s_add_co_ci_u32 s37, s34, 0
	s_wait_alu 0xfffe
	s_add_nc_u64 s[36:37], s[2:3], s[36:37]
	s_wait_alu 0xfffe
	v_add_co_u32 v4, s2, v4, s36
	s_delay_alu instid0(VALU_DEP_1) | instskip(SKIP_1) | instid1(VALU_DEP_1)
	s_cmp_lg_u32 s2, 0
	s_add_co_ci_u32 s2, s35, s37
	v_mul_hi_u32 v7, v5, v4
	s_wait_alu 0xfffe
	v_mad_co_u64_u32 v[10:11], null, v5, s2, 0
	v_mad_co_u64_u32 v[12:13], null, v6, v4, 0
	;; [unrolled: 1-line block ×3, first 2 shown]
	s_delay_alu instid0(VALU_DEP_3) | instskip(SKIP_1) | instid1(VALU_DEP_4)
	v_add_co_u32 v4, vcc_lo, v7, v10
	s_wait_alu 0xfffd
	v_add_co_ci_u32_e32 v7, vcc_lo, 0, v11, vcc_lo
	s_delay_alu instid0(VALU_DEP_2) | instskip(SKIP_1) | instid1(VALU_DEP_2)
	v_add_co_u32 v4, vcc_lo, v4, v12
	s_wait_alu 0xfffd
	v_add_co_ci_u32_e32 v4, vcc_lo, v7, v13, vcc_lo
	s_wait_alu 0xfffd
	v_add_co_ci_u32_e32 v7, vcc_lo, 0, v15, vcc_lo
	s_delay_alu instid0(VALU_DEP_2) | instskip(SKIP_1) | instid1(VALU_DEP_2)
	v_add_co_u32 v4, vcc_lo, v4, v14
	s_wait_alu 0xfffd
	v_add_co_ci_u32_e32 v7, vcc_lo, 0, v7, vcc_lo
	s_delay_alu instid0(VALU_DEP_2) | instskip(SKIP_1) | instid1(VALU_DEP_3)
	v_mul_lo_u32 v12, s29, v4
	v_mad_co_u64_u32 v[10:11], null, s28, v4, 0
	v_mul_lo_u32 v13, s28, v7
	s_delay_alu instid0(VALU_DEP_2) | instskip(NEXT) | instid1(VALU_DEP_2)
	v_sub_co_u32 v10, vcc_lo, v5, v10
	v_add3_u32 v11, v11, v13, v12
	s_delay_alu instid0(VALU_DEP_1) | instskip(SKIP_1) | instid1(VALU_DEP_1)
	v_sub_nc_u32_e32 v12, v6, v11
	s_wait_alu 0xfffd
	v_subrev_co_ci_u32_e64 v12, s2, s29, v12, vcc_lo
	v_add_co_u32 v13, s2, v4, 2
	s_wait_alu 0xf1ff
	v_add_co_ci_u32_e64 v14, s2, 0, v7, s2
	v_sub_co_u32 v15, s2, v10, s28
	v_sub_co_ci_u32_e32 v11, vcc_lo, v6, v11, vcc_lo
	s_wait_alu 0xf1ff
	v_subrev_co_ci_u32_e64 v12, s2, 0, v12, s2
	s_delay_alu instid0(VALU_DEP_3) | instskip(NEXT) | instid1(VALU_DEP_3)
	v_cmp_le_u32_e32 vcc_lo, s28, v15
	v_cmp_eq_u32_e64 s2, s29, v11
	s_wait_alu 0xfffd
	v_cndmask_b32_e64 v15, 0, -1, vcc_lo
	v_cmp_le_u32_e32 vcc_lo, s29, v12
	s_wait_alu 0xfffd
	v_cndmask_b32_e64 v16, 0, -1, vcc_lo
	v_cmp_le_u32_e32 vcc_lo, s28, v10
	;; [unrolled: 3-line block ×3, first 2 shown]
	s_wait_alu 0xfffd
	v_cndmask_b32_e64 v17, 0, -1, vcc_lo
	v_cmp_eq_u32_e32 vcc_lo, s29, v12
	s_wait_alu 0xf1ff
	s_delay_alu instid0(VALU_DEP_2)
	v_cndmask_b32_e64 v10, v17, v10, s2
	s_wait_alu 0xfffd
	v_cndmask_b32_e32 v12, v16, v15, vcc_lo
	v_add_co_u32 v15, vcc_lo, v4, 1
	s_wait_alu 0xfffd
	v_add_co_ci_u32_e32 v16, vcc_lo, 0, v7, vcc_lo
	s_delay_alu instid0(VALU_DEP_3) | instskip(SKIP_1) | instid1(VALU_DEP_2)
	v_cmp_ne_u32_e32 vcc_lo, 0, v12
	s_wait_alu 0xfffd
	v_dual_cndmask_b32 v11, v16, v14 :: v_dual_cndmask_b32 v12, v15, v13
	v_cmp_ne_u32_e32 vcc_lo, 0, v10
	s_wait_alu 0xfffd
	s_delay_alu instid0(VALU_DEP_2)
	v_dual_cndmask_b32 v11, v7, v11 :: v_dual_cndmask_b32 v10, v4, v12
.LBB0_4:                                ;   in Loop: Header=BB0_2 Depth=1
	s_wait_alu 0xfffe
	s_and_not1_saveexec_b32 s2, s30
	s_cbranch_execz .LBB0_6
; %bb.5:                                ;   in Loop: Header=BB0_2 Depth=1
	v_cvt_f32_u32_e32 v4, s28
	s_sub_co_i32 s30, 0, s28
	s_delay_alu instid0(VALU_DEP_1) | instskip(NEXT) | instid1(TRANS32_DEP_1)
	v_rcp_iflag_f32_e32 v4, v4
	v_mul_f32_e32 v4, 0x4f7ffffe, v4
	s_delay_alu instid0(VALU_DEP_1) | instskip(SKIP_1) | instid1(VALU_DEP_1)
	v_cvt_u32_f32_e32 v4, v4
	s_wait_alu 0xfffe
	v_mul_lo_u32 v7, s30, v4
	s_delay_alu instid0(VALU_DEP_1) | instskip(NEXT) | instid1(VALU_DEP_1)
	v_mul_hi_u32 v7, v4, v7
	v_add_nc_u32_e32 v4, v4, v7
	s_delay_alu instid0(VALU_DEP_1) | instskip(NEXT) | instid1(VALU_DEP_1)
	v_mul_hi_u32 v4, v5, v4
	v_mul_lo_u32 v7, v4, s28
	v_add_nc_u32_e32 v10, 1, v4
	s_delay_alu instid0(VALU_DEP_2) | instskip(NEXT) | instid1(VALU_DEP_1)
	v_sub_nc_u32_e32 v7, v5, v7
	v_subrev_nc_u32_e32 v11, s28, v7
	v_cmp_le_u32_e32 vcc_lo, s28, v7
	s_wait_alu 0xfffd
	s_delay_alu instid0(VALU_DEP_2) | instskip(SKIP_1) | instid1(VALU_DEP_2)
	v_cndmask_b32_e32 v7, v7, v11, vcc_lo
	v_dual_mov_b32 v11, v3 :: v_dual_cndmask_b32 v4, v4, v10
	v_cmp_le_u32_e32 vcc_lo, s28, v7
	s_delay_alu instid0(VALU_DEP_2) | instskip(SKIP_1) | instid1(VALU_DEP_1)
	v_add_nc_u32_e32 v10, 1, v4
	s_wait_alu 0xfffd
	v_cndmask_b32_e32 v10, v4, v10, vcc_lo
.LBB0_6:                                ;   in Loop: Header=BB0_2 Depth=1
	s_wait_alu 0xfffe
	s_or_b32 exec_lo, exec_lo, s2
	v_mul_lo_u32 v4, v11, s28
	s_delay_alu instid0(VALU_DEP_2)
	v_mul_lo_u32 v7, v10, s29
	s_load_b64 s[30:31], s[22:23], 0x0
	v_mad_co_u64_u32 v[12:13], null, v10, s28, 0
	s_load_b64 s[28:29], s[20:21], 0x0
	s_add_nc_u64 s[24:25], s[24:25], 1
	s_add_nc_u64 s[20:21], s[20:21], 8
	s_wait_alu 0xfffe
	v_cmp_ge_u64_e64 s2, s[24:25], s[10:11]
	s_add_nc_u64 s[22:23], s[22:23], 8
	s_add_nc_u64 s[26:27], s[26:27], 8
	v_add3_u32 v4, v13, v7, v4
	v_sub_co_u32 v5, vcc_lo, v5, v12
	s_wait_alu 0xfffd
	s_delay_alu instid0(VALU_DEP_2) | instskip(SKIP_2) | instid1(VALU_DEP_1)
	v_sub_co_ci_u32_e32 v4, vcc_lo, v6, v4, vcc_lo
	s_and_b32 vcc_lo, exec_lo, s2
	s_wait_kmcnt 0x0
	v_mul_lo_u32 v6, s30, v4
	v_mul_lo_u32 v7, s31, v5
	v_mad_co_u64_u32 v[1:2], null, s30, v5, v[1:2]
	v_mul_lo_u32 v4, s28, v4
	v_mul_lo_u32 v12, s29, v5
	v_mad_co_u64_u32 v[8:9], null, s28, v5, v[8:9]
	s_delay_alu instid0(VALU_DEP_4) | instskip(NEXT) | instid1(VALU_DEP_2)
	v_add3_u32 v2, v7, v2, v6
	v_add3_u32 v9, v12, v9, v4
	s_wait_alu 0xfffe
	s_cbranch_vccnz .LBB0_9
; %bb.7:                                ;   in Loop: Header=BB0_2 Depth=1
	v_dual_mov_b32 v5, v10 :: v_dual_mov_b32 v6, v11
	s_branch .LBB0_2
.LBB0_8:
	s_delay_alu instid0(VALU_DEP_2) | instskip(NEXT) | instid1(VALU_DEP_2)
	v_dual_mov_b32 v9, v2 :: v_dual_mov_b32 v8, v1
	v_dual_mov_b32 v11, v6 :: v_dual_mov_b32 v10, v5
.LBB0_9:
	s_load_b64 s[0:1], s[0:1], 0x28
	s_lshl_b64 s[10:11], s[10:11], 3
	v_mul_hi_u32 v3, 0x1a41a42, v0
	s_wait_alu 0xfffe
	s_add_nc_u64 s[2:3], s[14:15], s[10:11]
	v_mov_b32_e32 v20, 0
	s_load_b64 s[2:3], s[2:3], 0x0
                                        ; implicit-def: $vgpr13
                                        ; implicit-def: $vgpr12
                                        ; implicit-def: $vgpr19
                                        ; implicit-def: $vgpr7
                                        ; implicit-def: $vgpr21
                                        ; implicit-def: $vgpr6
                                        ; implicit-def: $vgpr22
                                        ; implicit-def: $vgpr5
                                        ; implicit-def: $vgpr23
                                        ; implicit-def: $vgpr4
                                        ; implicit-def: $vgpr24
	s_delay_alu instid0(VALU_DEP_2) | instskip(NEXT) | instid1(VALU_DEP_1)
	v_mul_u32_u24_e32 v3, 0x9c, v3
	v_sub_nc_u32_e32 v14, v0, v3
	v_mov_b32_e32 v0, 0
                                        ; implicit-def: $vgpr3
	s_wait_kmcnt 0x0
	v_cmp_gt_u64_e32 vcc_lo, s[0:1], v[10:11]
	s_and_saveexec_b32 s1, vcc_lo
	s_cbranch_execz .LBB0_13
; %bb.10:
	v_mov_b32_e32 v0, 0
	s_mov_b32 s14, exec_lo
                                        ; implicit-def: $vgpr3
                                        ; implicit-def: $vgpr24
                                        ; implicit-def: $vgpr4
                                        ; implicit-def: $vgpr23
                                        ; implicit-def: $vgpr5
                                        ; implicit-def: $vgpr22
                                        ; implicit-def: $vgpr6
                                        ; implicit-def: $vgpr21
                                        ; implicit-def: $vgpr7
                                        ; implicit-def: $vgpr19
                                        ; implicit-def: $vgpr12
                                        ; implicit-def: $vgpr13
	v_cmpx_gt_u32_e32 0x84, v14
	s_cbranch_execz .LBB0_12
; %bb.11:
	s_add_nc_u64 s[10:11], s[12:13], s[10:11]
	v_mad_co_u64_u32 v[3:4], null, s18, v14, 0
	s_load_b64 s[10:11], s[10:11], 0x0
	v_add_nc_u32_e32 v25, 0x18c, v14
	v_lshlrev_b64_e32 v[0:1], 2, v[1:2]
	v_add_nc_u32_e32 v24, 0x108, v14
	v_add_nc_u32_e32 v29, 0x4a4, v14
	v_dual_mov_b32 v2, v4 :: v_dual_add_nc_u32 v31, 0x528, v14
	v_mad_co_u64_u32 v[15:16], null, s18, v25, 0
	v_add_nc_u32_e32 v22, 0x84, v14
	v_mad_co_u64_u32 v[12:13], null, s18, v24, 0
	s_delay_alu instid0(VALU_DEP_4)
	v_mad_co_u64_u32 v[19:20], null, s19, v14, v[2:3]
	v_add_nc_u32_e32 v37, 0x630, v14
	v_mov_b32_e32 v7, v16
	v_mad_co_u64_u32 v[5:6], null, s18, v22, 0
	s_wait_kmcnt 0x0
	v_mul_lo_u32 v4, s11, v10
	v_mul_lo_u32 v23, s10, v11
	v_mad_co_u64_u32 v[17:18], null, s10, v10, 0
	s_delay_alu instid0(VALU_DEP_4) | instskip(SKIP_1) | instid1(VALU_DEP_3)
	v_mov_b32_e32 v2, v6
	v_mov_b32_e32 v6, v13
	v_add3_u32 v18, v18, v23, v4
	v_mov_b32_e32 v4, v19
	s_delay_alu instid0(VALU_DEP_2)
	v_lshlrev_b64_e32 v[16:17], 2, v[17:18]
	v_mad_co_u64_u32 v[18:19], null, s19, v25, v[7:8]
	v_add_nc_u32_e32 v19, 0x294, v14
	v_mad_co_u64_u32 v[22:23], null, s19, v22, v[2:3]
	v_lshlrev_b64_e32 v[2:3], 2, v[3:4]
	v_add_co_u32 v4, s0, s4, v16
	v_mad_co_u64_u32 v[23:24], null, s19, v24, v[6:7]
	s_wait_alu 0xf1ff
	v_add_co_ci_u32_e64 v7, s0, s5, v17, s0
	v_mov_b32_e32 v6, v22
	v_add_co_u32 v38, s0, v4, v0
	s_wait_alu 0xf1ff
	s_delay_alu instid0(VALU_DEP_3) | instskip(NEXT) | instid1(VALU_DEP_3)
	v_add_co_ci_u32_e64 v39, s0, v7, v1, s0
	v_lshlrev_b64_e32 v[0:1], 2, v[5:6]
	v_mov_b32_e32 v13, v23
	v_add_co_u32 v2, s0, v38, v2
	s_wait_alu 0xf1ff
	v_add_co_ci_u32_e64 v3, s0, v39, v3, s0
	s_delay_alu instid0(VALU_DEP_4)
	v_add_co_u32 v4, s0, v38, v0
	s_wait_alu 0xf1ff
	v_add_co_ci_u32_e64 v5, s0, v39, v1, s0
	v_lshlrev_b64_e32 v[0:1], 2, v[12:13]
	v_mad_co_u64_u32 v[12:13], null, s18, v19, 0
	v_add_nc_u32_e32 v26, 0x210, v14
	v_add_nc_u32_e32 v22, 0x318, v14
	;; [unrolled: 1-line block ×3, first 2 shown]
	v_add_co_u32 v17, s0, v38, v0
	s_delay_alu instid0(VALU_DEP_4) | instskip(NEXT) | instid1(VALU_DEP_1)
	v_mad_co_u64_u32 v[20:21], null, s18, v26, 0
	v_mov_b32_e32 v6, v21
	s_delay_alu instid0(VALU_DEP_1) | instskip(SKIP_1) | instid1(VALU_DEP_2)
	v_mad_co_u64_u32 v[6:7], null, s19, v26, v[6:7]
	v_mov_b32_e32 v7, v13
	v_mov_b32_e32 v21, v6
	s_delay_alu instid0(VALU_DEP_2) | instskip(SKIP_3) | instid1(VALU_DEP_3)
	v_mad_co_u64_u32 v[6:7], null, s19, v19, v[7:8]
	v_mov_b32_e32 v16, v18
	s_wait_alu 0xf1ff
	v_add_co_ci_u32_e64 v18, s0, v39, v1, s0
	v_mov_b32_e32 v13, v6
	s_delay_alu instid0(VALU_DEP_3) | instskip(SKIP_1) | instid1(VALU_DEP_3)
	v_lshlrev_b64_e32 v[0:1], 2, v[15:16]
	v_mad_co_u64_u32 v[15:16], null, s18, v22, 0
	v_lshlrev_b64_e32 v[12:13], 2, v[12:13]
	s_delay_alu instid0(VALU_DEP_3) | instskip(SKIP_1) | instid1(VALU_DEP_4)
	v_add_co_u32 v25, s0, v38, v0
	s_wait_alu 0xf1ff
	v_add_co_ci_u32_e64 v26, s0, v39, v1, s0
	v_lshlrev_b64_e32 v[0:1], 2, v[20:21]
	v_mov_b32_e32 v7, v16
	v_mad_co_u64_u32 v[19:20], null, s18, v23, 0
	s_delay_alu instid0(VALU_DEP_2) | instskip(NEXT) | instid1(VALU_DEP_4)
	v_mad_co_u64_u32 v[6:7], null, s19, v22, v[7:8]
	v_add_co_u32 v27, s0, v38, v0
	s_delay_alu instid0(VALU_DEP_3)
	v_mov_b32_e32 v0, v20
	v_mad_co_u64_u32 v[21:22], null, s18, v29, 0
	v_add_nc_u32_e32 v24, 0x420, v14
	s_wait_alu 0xf1ff
	v_add_co_ci_u32_e64 v28, s0, v39, v1, s0
	v_mov_b32_e32 v16, v6
	v_mad_co_u64_u32 v[0:1], null, s19, v23, v[0:1]
	v_mad_co_u64_u32 v[6:7], null, s18, v24, 0
	v_add_co_u32 v12, s0, v38, v12
	s_wait_alu 0xf1ff
	v_add_co_ci_u32_e64 v13, s0, v39, v13, s0
	s_delay_alu instid0(VALU_DEP_4) | instskip(NEXT) | instid1(VALU_DEP_4)
	v_mov_b32_e32 v20, v0
	v_mov_b32_e32 v0, v7
	s_delay_alu instid0(VALU_DEP_2) | instskip(NEXT) | instid1(VALU_DEP_2)
	v_lshlrev_b64_e32 v[19:20], 2, v[19:20]
	v_mad_co_u64_u32 v[0:1], null, s19, v24, v[0:1]
	v_mad_co_u64_u32 v[23:24], null, s18, v31, 0
	v_mov_b32_e32 v1, v22
	s_delay_alu instid0(VALU_DEP_3) | instskip(NEXT) | instid1(VALU_DEP_2)
	v_mov_b32_e32 v7, v0
	v_mad_co_u64_u32 v[0:1], null, s19, v29, v[1:2]
	s_delay_alu instid0(VALU_DEP_4) | instskip(SKIP_1) | instid1(VALU_DEP_4)
	v_mov_b32_e32 v1, v24
	v_lshlrev_b64_e32 v[15:16], 2, v[15:16]
	v_lshlrev_b64_e32 v[6:7], 2, v[6:7]
	s_delay_alu instid0(VALU_DEP_3)
	v_mad_co_u64_u32 v[31:32], null, s19, v31, v[1:2]
	v_mad_co_u64_u32 v[32:33], null, s18, v37, 0
	v_add_nc_u32_e32 v36, 0x5ac, v14
	v_mov_b32_e32 v22, v0
	v_add_co_u32 v15, s0, v38, v15
	s_wait_alu 0xf1ff
	v_add_co_ci_u32_e64 v16, s0, v39, v16, s0
	v_mad_co_u64_u32 v[29:30], null, s18, v36, 0
	v_add_co_u32 v34, s0, v38, v19
	s_wait_alu 0xf1ff
	v_add_co_ci_u32_e64 v35, s0, v39, v20, s0
	v_lshlrev_b64_e32 v[19:20], 2, v[21:22]
	s_delay_alu instid0(VALU_DEP_4) | instskip(SKIP_3) | instid1(VALU_DEP_3)
	v_dual_mov_b32 v24, v31 :: v_dual_mov_b32 v1, v30
	v_add_co_u32 v6, s0, v38, v6
	s_wait_alu 0xf1ff
	v_add_co_ci_u32_e64 v7, s0, v39, v7, s0
	v_mad_co_u64_u32 v[0:1], null, s19, v36, v[1:2]
	v_mov_b32_e32 v1, v33
	v_add_co_u32 v36, s0, v38, v19
	s_delay_alu instid0(VALU_DEP_2) | instskip(NEXT) | instid1(VALU_DEP_4)
	v_mad_co_u64_u32 v[21:22], null, s19, v37, v[1:2]
	v_mov_b32_e32 v30, v0
	v_lshlrev_b64_e32 v[22:23], 2, v[23:24]
	s_wait_alu 0xf1ff
	v_add_co_ci_u32_e64 v37, s0, v39, v20, s0
	s_delay_alu instid0(VALU_DEP_3) | instskip(SKIP_1) | instid1(VALU_DEP_4)
	v_lshlrev_b64_e32 v[0:1], 2, v[29:30]
	v_mov_b32_e32 v33, v21
	v_add_co_u32 v29, s0, v38, v22
	s_wait_alu 0xf1ff
	v_add_co_ci_u32_e64 v30, s0, v39, v23, s0
	s_delay_alu instid0(VALU_DEP_3) | instskip(SKIP_3) | instid1(VALU_DEP_3)
	v_lshlrev_b64_e32 v[19:20], 2, v[32:33]
	v_add_co_u32 v31, s0, v38, v0
	s_wait_alu 0xf1ff
	v_add_co_ci_u32_e64 v32, s0, v39, v1, s0
	v_add_co_u32 v38, s0, v38, v19
	s_wait_alu 0xf1ff
	v_add_co_ci_u32_e64 v39, s0, v39, v20, s0
	s_clause 0xc
	global_load_b32 v0, v[2:3], off
	global_load_b32 v24, v[4:5], off
	;; [unrolled: 1-line block ×13, first 2 shown]
.LBB0_12:
	s_or_b32 exec_lo, exec_lo, s14
	v_mov_b32_e32 v20, v14
.LBB0_13:
	s_wait_alu 0xfffe
	s_or_b32 exec_lo, exec_lo, s1
	s_wait_loadcnt 0x0
	v_pk_add_f16 v38, v24, v3 neg_lo:[0,1] neg_hi:[0,1]
	v_pk_add_f16 v41, v23, v4 neg_lo:[0,1] neg_hi:[0,1]
	v_pk_add_f16 v1, v24, v3
	v_pk_add_f16 v2, v23, v4
	v_pk_add_f16 v44, v22, v5 neg_lo:[0,1] neg_hi:[0,1]
	v_lshrrev_b32_e32 v35, 16, v38
	v_lshrrev_b32_e32 v36, 16, v41
	;; [unrolled: 1-line block ×3, first 2 shown]
	v_mul_f16_e32 v49, 0xba95, v38
	v_lshrrev_b32_e32 v25, 16, v0
	v_mul_f16_e32 v45, 0xba95, v35
	v_mul_f16_e32 v54, 0xbbf1, v35
	;; [unrolled: 1-line block ×4, first 2 shown]
	v_lshrrev_b32_e32 v28, 16, v2
	v_fma_f16 v16, v1, 0x388b, -v45
	v_fmamk_f16 v15, v27, 0x388b, v49
	v_fma_f16 v17, v1, 0x2fb7, -v54
	v_fma_f16 v26, v2, 0xb5ac, -v46
	v_mul_f16_e32 v53, 0xbb7b, v41
	v_add_f16_e32 v16, v0, v16
	v_mul_f16_e32 v58, 0xb3a8, v36
	v_lshrrev_b32_e32 v39, 16, v44
	v_fmamk_f16 v18, v27, 0x2fb7, v59
	v_add_f16_e32 v15, v25, v15
	v_add_f16_e32 v17, v0, v17
	;; [unrolled: 1-line block ×3, first 2 shown]
	v_fmamk_f16 v29, v28, 0xb5ac, v53
	v_fma_f16 v30, v2, 0xbbc4, -v58
	v_mul_f16_e32 v65, 0xb3a8, v41
	v_pk_add_f16 v26, v22, v5
	v_mul_f16_e32 v48, 0xb3a8, v39
	v_pk_add_f16 v47, v21, v6 neg_lo:[0,1] neg_hi:[0,1]
	v_add_f16_e32 v18, v25, v18
	v_add_f16_e32 v15, v29, v15
	;; [unrolled: 1-line block ×3, first 2 shown]
	v_fmamk_f16 v29, v28, 0xbbc4, v65
	v_lshrrev_b32_e32 v31, 16, v26
	v_fma_f16 v30, v26, 0xbbc4, -v48
	v_mul_f16_e32 v57, 0xb3a8, v44
	v_mul_f16_e32 v60, 0x3b7b, v39
	v_lshrrev_b32_e32 v43, 16, v47
	v_add_f16_e32 v18, v29, v18
	v_add_f16_e32 v16, v30, v16
	v_fmamk_f16 v30, v31, 0xbbc4, v57
	v_fma_f16 v32, v26, 0xb5ac, -v60
	v_mul_f16_e32 v68, 0x3b7b, v44
	v_pk_add_f16 v29, v21, v6
	v_mul_f16_e32 v51, 0x394e, v43
	v_pk_add_f16 v50, v19, v7 neg_lo:[0,1] neg_hi:[0,1]
	v_add_f16_e32 v15, v30, v15
	v_add_f16_e32 v17, v32, v17
	v_fmamk_f16 v30, v31, 0xb5ac, v68
	v_lshrrev_b32_e32 v33, 16, v29
	v_fma_f16 v32, v29, 0xb9fd, -v51
	v_mul_f16_e32 v61, 0x394e, v47
	v_mul_f16_e32 v64, 0x3770, v43
	v_lshrrev_b32_e32 v40, 16, v50
	v_add_f16_e32 v18, v30, v18
	v_add_f16_e32 v16, v32, v16
	v_fmamk_f16 v32, v33, 0xb9fd, v61
	v_fma_f16 v34, v29, 0x3b15, -v64
	v_mul_f16_e32 v69, 0x3770, v47
	v_pk_add_f16 v30, v19, v7
	v_mul_f16_e32 v55, 0x3bf1, v40
	v_add_f16_e32 v15, v32, v15
	v_add_f16_e32 v17, v34, v17
	v_fmamk_f16 v32, v33, 0x3b15, v69
	v_lshrrev_b32_e32 v34, 16, v30
	v_fma_f16 v37, v30, 0x2fb7, -v55
	v_mul_f16_e32 v62, 0x3bf1, v50
	v_mul_f16_e32 v66, 0xba95, v40
	v_pk_add_f16 v52, v13, v12 neg_lo:[0,1] neg_hi:[0,1]
	v_add_f16_e32 v18, v32, v18
	v_add_f16_e32 v16, v37, v16
	v_fmamk_f16 v37, v34, 0x2fb7, v62
	v_fma_f16 v56, v30, 0x388b, -v66
	v_mul_f16_e32 v71, 0xba95, v50
	v_lshrrev_b32_e32 v42, 16, v52
	v_pk_add_f16 v32, v13, v12
	v_add_f16_e32 v15, v37, v15
	v_add_f16_e32 v72, v56, v17
	v_fmamk_f16 v17, v34, 0x388b, v71
	v_mul_f16_e32 v56, 0x3770, v42
	v_lshrrev_b32_e32 v37, 16, v32
	v_mul_f16_e32 v63, 0x3770, v52
	v_mul_f16_e32 v67, 0xb94e, v42
	;; [unrolled: 1-line block ×3, first 2 shown]
	v_add_f16_e32 v73, v17, v18
	v_fma_f16 v17, v32, 0x3b15, -v56
	v_fmamk_f16 v18, v37, 0x3b15, v63
	v_fma_f16 v74, v32, 0xb9fd, -v67
	v_fmamk_f16 v75, v37, 0xb9fd, v70
	s_mov_b32 s1, exec_lo
	v_add_f16_e32 v17, v17, v16
	v_add_f16_e32 v18, v18, v15
	;; [unrolled: 1-line block ×4, first 2 shown]
	v_cmpx_gt_u32_e32 0x84, v14
	s_cbranch_execz .LBB0_15
; %bb.14:
	v_mul_f16_e32 v72, 0xbb7b, v38
	v_mul_f16_e32 v73, 0x394e, v41
	;; [unrolled: 1-line block ×5, first 2 shown]
	v_fmamk_f16 v77, v27, 0xb5ac, v72
	v_fmamk_f16 v81, v28, 0xb9fd, v73
	v_mul_f16_e32 v80, 0xb9fd, v2
	v_fmamk_f16 v85, v31, 0x3b15, v74
	v_mul_f16_e32 v76, 0x33a8, v50
	v_add_f16_e32 v77, v25, v77
	v_mul_f16_e32 v82, 0x3b15, v26
	v_mul_f16_e32 v84, 0xb94e, v38
	v_fmamk_f16 v87, v33, 0x2fb7, v75
	v_fmamk_f16 v88, v36, 0xb94e, v80
	v_add_f16_e32 v77, v81, v77
	v_fmamk_f16 v81, v35, 0x3b7b, v79
	v_mul_f16_e32 v83, 0x2fb7, v29
	v_mul_f16_e32 v86, 0x3bf1, v41
	v_fmamk_f16 v89, v39, 0xb770, v82
	v_add_f16_e32 v77, v85, v77
	v_add_f16_e32 v81, v0, v81
	v_fmamk_f16 v85, v34, 0xbbc4, v76
	v_fmamk_f16 v90, v27, 0xb9fd, v84
	v_mul_f16_e32 v92, 0xb9fd, v1
	v_add_f16_e32 v77, v87, v77
	v_add_f16_e32 v81, v88, v81
	v_mul_f16_e32 v78, 0x3a95, v52
	v_mul_f16_e32 v87, 0xba95, v44
	v_fmamk_f16 v88, v28, 0x2fb7, v86
	v_add_f16_e32 v90, v25, v90
	v_add_f16_e32 v77, v85, v77
	v_add_f16_e32 v81, v89, v81
	v_fmamk_f16 v85, v43, 0x3bf1, v83
	v_mul_f16_e32 v89, 0xbbc4, v30
	v_fmamk_f16 v95, v35, 0x394e, v92
	v_mul_f16_e32 v96, 0x2fb7, v2
	v_add_f16_e32 v88, v88, v90
	v_fmamk_f16 v90, v31, 0x388b, v87
	v_mul_f16_e32 v91, 0x33a8, v47
	v_add_f16_e32 v81, v85, v81
	v_fmamk_f16 v85, v40, 0xb3a8, v89
	v_mul_f16_e32 v93, 0x388b, v32
	v_fmamk_f16 v97, v37, 0x388b, v78
	v_add_f16_e32 v95, v0, v95
	v_fmamk_f16 v98, v36, 0xbbf1, v96
	v_mul_f16_e32 v99, 0x388b, v26
	v_add_f16_e32 v88, v90, v88
	v_fmamk_f16 v90, v33, 0xbbc4, v91
	v_mul_f16_e32 v94, 0x3770, v50
	v_add_f16_e32 v81, v85, v81
	v_fmamk_f16 v85, v42, 0xba95, v93
	v_add_f16_e32 v95, v98, v95
	v_fmamk_f16 v98, v39, 0x3a95, v99
	v_mul_f16_e32 v101, 0xbbc4, v29
	v_add_f16_e32 v77, v97, v77
	v_pk_mul_f16 v97, 0xb3a8, v38 op_sel_hi:[0,1]
	v_add_f16_e32 v88, v90, v88
	v_fmamk_f16 v90, v34, 0x3b15, v94
	v_add_f16_e32 v81, v85, v81
	v_add_f16_e32 v85, v98, v95
	v_fmamk_f16 v95, v43, 0xb3a8, v101
	v_mul_f16_e32 v98, 0x3b15, v30
	v_pk_fma_f16 v102, 0xbbc4, v1, v97 op_sel:[0,0,1] op_sel_hi:[0,1,0]
	v_pk_mul_f16 v103, 0x3770, v41 op_sel_hi:[0,1]
	v_add_f16_e32 v88, v90, v88
	v_add_f16_e32 v85, v95, v85
	v_fmamk_f16 v90, v40, 0xb770, v98
	v_pk_add_f16 v95, v0, v102
	v_pk_fma_f16 v102, 0x3b15, v2, v103 op_sel:[0,0,1] op_sel_hi:[0,1,0]
	v_pk_mul_f16 v104, 0xb94e, v44 op_sel_hi:[0,1]
	v_mul_f16_e32 v100, 0xbb7b, v52
	v_add_f16_e32 v85, v90, v85
	v_fma_f16 v84, v27, 0xb9fd, -v84
	v_pk_add_f16 v90, v102, v95
	v_pk_fma_f16 v95, 0xb9fd, v26, v104 op_sel:[0,0,1] op_sel_hi:[0,1,0]
	v_pk_mul_f16 v102, 0x3a95, v47 op_sel_hi:[0,1]
	v_fmac_f16_e32 v92, 0xb94e, v35
	v_fmac_f16_e32 v79, 0xbb7b, v35
	v_fmamk_f16 v105, v37, 0xb5ac, v100
	v_pk_add_f16 v90, v95, v90
	v_pk_fma_f16 v95, 0x388b, v29, v102 op_sel:[0,0,1] op_sel_hi:[0,1,0]
	v_add_f16_e32 v84, v25, v84
	v_fma_f16 v86, v28, 0x2fb7, -v86
	v_add_f16_e32 v92, v0, v92
	v_fmac_f16_e32 v96, 0x3bf1, v36
	v_pk_add_f16 v90, v95, v90
	v_pk_mul_f16 v95, 0xbb7b, v50 op_sel_hi:[0,1]
	v_fma_f16 v72, v27, 0xb5ac, -v72
	v_add_f16_e32 v79, v0, v79
	v_fmac_f16_e32 v80, 0x394e, v36
	v_add_f16_e32 v88, v105, v88
	v_add_f16_e32 v84, v86, v84
	v_fma_f16 v86, v31, 0x388b, -v87
	v_pk_fma_f16 v87, 0xb5ac, v30, v95 op_sel:[0,0,1] op_sel_hi:[0,1,0]
	v_pk_mul_f16 v105, 0x3bf1, v52 op_sel_hi:[0,1]
	v_add_f16_e32 v92, v96, v92
	v_fmac_f16_e32 v99, 0xba95, v39
	v_add_f16_e32 v72, v25, v72
	v_fma_f16 v73, v28, 0xb9fd, -v73
	v_add_f16_e32 v79, v80, v79
	v_fmac_f16_e32 v82, 0x3770, v39
	v_add_f16_e32 v84, v86, v84
	v_fma_f16 v86, v33, 0xbbc4, -v91
	v_pk_add_f16 v87, v87, v90
	v_pk_fma_f16 v90, 0x2fb7, v32, v105 op_sel:[0,0,1] op_sel_hi:[0,1,0]
	v_add_f16_e32 v91, v99, v92
	v_fmac_f16_e32 v101, 0x33a8, v43
	v_add_f16_e32 v72, v73, v72
	v_fma_f16 v73, v31, 0x3b15, -v74
	v_add_f16_e32 v79, v82, v79
	v_fmac_f16_e32 v83, 0xbbf1, v43
	v_mul_f16_e32 v106, 0xb5ac, v32
	v_pk_add_f16 v87, v90, v87
	v_add_f16_e32 v90, v101, v91
	v_fmac_f16_e32 v98, 0x3770, v40
	v_add_f16_e32 v72, v73, v72
	v_fma_f16 v73, v33, 0x2fb7, -v75
	v_mul_f16_e32 v80, 0x2fb7, v1
	v_add_f16_e32 v79, v83, v79
	v_fmac_f16_e32 v89, 0x33a8, v40
	v_fmamk_f16 v107, v42, 0x3b7b, v106
	v_add_f16_e32 v90, v98, v90
	v_fmac_f16_e32 v106, 0xbb7b, v42
	v_add_f16_e32 v72, v73, v72
	v_fma_f16 v73, v34, 0xbbc4, -v76
	v_mul_f16_e32 v76, 0x2fb7, v27
	v_mul_f16_e32 v83, 0xbbc4, v2
	v_add_f16_e32 v79, v89, v79
	v_mul_f16_e32 v89, 0xb5ac, v31
	v_add_f16_e32 v54, v54, v80
	v_add_f16_e32 v84, v86, v84
	v_fma_f16 v86, v34, 0x3b15, -v94
	v_add_f16_e32 v74, v106, v90
	v_mul_f16_e32 v75, 0x388b, v27
	v_sub_f16_e32 v59, v76, v59
	v_mul_f16_e32 v76, 0xbbc4, v28
	v_sub_f16_e32 v68, v89, v68
	v_mul_f16_e32 v89, 0xb5ac, v26
	v_mul_f16_e32 v90, 0x3b15, v33
	v_add_f16_e32 v58, v58, v83
	v_add_f16_e32 v54, v0, v54
	;; [unrolled: 1-line block ×3, first 2 shown]
	v_fma_f16 v86, v37, 0xb5ac, -v100
	v_add_f16_e32 v72, v73, v72
	v_mul_f16_e32 v73, 0xb5ac, v28
	v_add_f16_e32 v59, v25, v59
	v_sub_f16_e32 v65, v76, v65
	v_mul_f16_e32 v80, 0x3b15, v29
	v_sub_f16_e32 v69, v90, v69
	v_mul_f16_e32 v90, 0x388b, v34
	v_add_f16_e32 v54, v58, v54
	v_sub_f16_e32 v49, v75, v49
	v_add_f16_e32 v60, v60, v89
	v_add_f16_e32 v84, v86, v84
	v_mul_f16_e32 v86, 0x388b, v1
	v_add_f16_e32 v59, v65, v59
	v_mul_f16_e32 v65, 0xbbc4, v31
	v_sub_f16_e32 v71, v90, v71
	v_mul_f16_e32 v90, 0x388b, v30
	v_sub_f16_e32 v53, v73, v53
	v_add_f16_e32 v49, v25, v49
	v_add_f16_e32 v54, v60, v54
	;; [unrolled: 1-line block ×3, first 2 shown]
	v_mul_f16_e32 v82, 0xb5ac, v2
	v_add_f16_e32 v59, v68, v59
	v_mul_f16_e32 v68, 0xb9fd, v33
	v_mul_f16_e32 v89, 0xb9fd, v32
	v_add_f16_e32 v49, v53, v49
	v_sub_f16_e32 v53, v65, v57
	v_add_f16_e32 v54, v60, v54
	v_add_f16_e32 v57, v66, v90
	;; [unrolled: 1-line block ×3, first 2 shown]
	v_mul_f16_e32 v76, 0xbbc4, v26
	v_fma_f16 v78, v37, 0x388b, -v78
	v_add_f16_e32 v59, v69, v59
	v_mul_f16_e32 v69, 0x2fb7, v34
	v_add_f16_e32 v49, v53, v49
	v_sub_f16_e32 v53, v68, v61
	v_add_f16_e32 v54, v57, v54
	v_add_f16_e32 v45, v0, v45
	;; [unrolled: 1-line block ×4, first 2 shown]
	v_mul_f16_e32 v38, 0xb770, v38
	v_add_f16_e32 v72, v78, v72
	v_mul_f16_e32 v78, 0xb9fd, v29
	v_add_f16_e32 v49, v53, v49
	v_sub_f16_e32 v53, v69, v62
	v_add_f16_e32 v45, v46, v45
	v_add_f16_e32 v46, v48, v76
	;; [unrolled: 1-line block ×3, first 2 shown]
	v_fma_f16 v54, v27, 0x3b15, -v38
	v_mul_f16_e32 v41, 0xba95, v41
	v_mul_f16_e32 v83, 0x2fb7, v30
	v_add_f16_e32 v49, v53, v49
	v_add_f16_e32 v45, v46, v45
	;; [unrolled: 1-line block ×4, first 2 shown]
	v_fma_f16 v53, v28, 0x388b, -v41
	v_mul_f16_e32 v44, 0xbbf1, v44
	v_mul_f16_e32 v47, 0xbb7b, v47
	v_add_f16_e32 v45, v46, v45
	v_add_f16_e32 v46, v55, v83
	;; [unrolled: 1-line block ×3, first 2 shown]
	v_fma_f16 v53, v31, 0x2fb7, -v44
	v_mul_f16_e32 v35, 0xb770, v35
	v_mul_f16_e32 v50, 0xb94e, v50
	v_add_f16_e32 v45, v46, v45
	v_mul_f16_e32 v36, 0xba95, v36
	v_add_f16_e32 v46, v53, v51
	v_fma_f16 v51, v33, 0xb5ac, -v47
	v_fmamk_f16 v53, v1, 0x3b15, v35
	v_pk_add_f16 v24, v0, v24
	v_fmamk_f16 v55, v2, 0x388b, v36
	v_mul_f16_e32 v39, 0xbbf1, v39
	v_add_f16_e32 v46, v51, v46
	v_fma_f16 v51, v34, 0xb9fd, -v50
	v_add_f16_e32 v53, v0, v53
	v_pk_add_f16 v23, v24, v23
	v_mul_f16_e32 v43, 0xbb7b, v43
	v_fmac_f16_e32 v38, 0x3b15, v27
	v_add_f16_e32 v46, v51, v46
	v_mul_f16_e32 v51, 0xb3a8, v52
	v_add_f16_e32 v52, v55, v53
	v_fmamk_f16 v53, v26, 0x2fb7, v39
	v_pk_add_f16 v22, v23, v22
	v_mul_f16_e32 v24, 0xb94e, v40
	v_add_f16_e32 v25, v25, v38
	v_fmac_f16_e32 v41, 0x388b, v28
	v_add_f16_e32 v27, v53, v52
	v_fmamk_f16 v52, v29, 0xb5ac, v43
	v_pk_add_f16 v21, v22, v21
	v_fmamk_f16 v23, v30, 0xb9fd, v24
	v_mul_f16_e32 v75, 0x3b15, v37
	v_add_f16_e32 v25, v41, v25
	v_add_f16_e32 v27, v52, v27
	v_pk_add_f16 v19, v21, v19
	v_fmac_f16_e32 v44, 0x2fb7, v31
	v_mul_f16_e32 v58, 0x3b15, v32
	v_sub_f16_e32 v54, v75, v63
	v_add_f16_e32 v22, v23, v27
	v_fma_f16 v23, v1, 0x3b15, -v35
	v_pk_add_f16 v13, v19, v13
	v_pk_fma_f16 v1, 0xbbc4, v1, v97 op_sel:[0,0,1] op_sel_hi:[0,1,0] neg_lo:[0,0,1] neg_hi:[0,0,1]
	v_add_f16_e32 v25, v44, v25
	v_fmac_f16_e32 v47, 0xb5ac, v33
	v_add_f16_e32 v21, v0, v23
	v_pk_add_f16 v12, v13, v12
	v_pk_add_f16 v0, v0, v1
	v_pk_fma_f16 v1, 0x3b15, v2, v103 op_sel:[0,0,1] op_sel_hi:[0,1,0] neg_lo:[0,0,1] neg_hi:[0,0,1]
	v_fma_f16 v23, v2, 0x388b, -v36
	v_add_f16_e32 v49, v54, v49
	v_pk_add_f16 v7, v12, v7
	v_add_f16_e32 v54, v56, v58
	v_pk_add_f16 v0, v1, v0
	v_pk_fma_f16 v1, 0xb9fd, v26, v104 op_sel:[0,0,1] op_sel_hi:[0,1,0] neg_lo:[0,0,1] neg_hi:[0,0,1]
	v_add_f16_e32 v21, v23, v21
	v_fma_f16 v23, v26, 0x2fb7, -v39
	v_pk_add_f16 v6, v7, v6
	v_mul_f16_e32 v27, 0xb3a8, v42
	v_pk_add_f16 v0, v1, v0
	v_pk_fma_f16 v1, 0x388b, v29, v102 op_sel:[0,0,1] op_sel_hi:[0,1,0] neg_lo:[0,0,1] neg_hi:[0,0,1]
	v_add_f16_e32 v2, v23, v21
	v_fma_f16 v13, v29, 0xb5ac, -v43
	v_mul_f16_e32 v73, 0xb9fd, v37
	v_add_f16_e32 v19, v47, v25
	v_fmac_f16_e32 v50, 0xb9fd, v34
	v_pk_add_f16 v5, v6, v5
	v_pk_add_f16 v0, v1, v0
	v_pk_fma_f16 v1, 0xb5ac, v30, v95 op_sel:[0,0,1] op_sel_hi:[0,1,0] neg_lo:[0,0,1] neg_hi:[0,0,1]
	v_add_f16_e32 v45, v54, v45
	v_fma_f16 v54, v37, 0xbbc4, -v51
	v_fmamk_f16 v31, v32, 0xbbc4, v27
	v_add_f16_e32 v2, v13, v2
	v_fma_f16 v13, v30, 0xb9fd, -v24
	v_fmac_f16_e32 v93, 0x3a95, v42
	v_add_f16_e32 v59, v71, v59
	v_sub_f16_e32 v64, v73, v70
	v_add_f16_e32 v12, v50, v19
	v_fmac_f16_e32 v51, 0xbbc4, v37
	v_pk_add_f16 v4, v5, v4
	v_pk_add_f16 v0, v1, v0
	v_pk_fma_f16 v1, 0x2fb7, v32, v105 op_sel:[0,0,1] op_sel_hi:[0,1,0] neg_lo:[0,0,1] neg_hi:[0,0,1]
	v_add_f16_e32 v28, v54, v46
	v_add_f16_e32 v2, v13, v2
	v_fma_f16 v6, v32, 0xbbc4, -v27
	v_add_f16_e32 v7, v31, v22
	v_add_f16_e32 v79, v93, v79
	;; [unrolled: 1-line block ×4, first 2 shown]
	v_pk_add_f16 v3, v4, v3
	v_mad_u32_u24 v4, v14, 52, 0
	v_pack_b32_f16 v12, v74, v84
	v_pk_add_f16 v0, v1, v0
	v_add_f16_e32 v85, v107, v85
	v_add_f16_e32 v2, v6, v2
	v_pack_b32_f16 v6, v45, v49
	v_pack_b32_f16 v1, v7, v28
	;; [unrolled: 1-line block ×4, first 2 shown]
	ds_store_2addr_b32 v4, v3, v12 offset1:5
	v_bfi_b32 v3, 0xffff, v0, v87
	v_bfi_b32 v0, 0xffff, v87, v0
	v_pack_b32_f16 v12, v81, v77
	v_pack_b32_f16 v19, v85, v88
	v_perm_b32 v21, v18, v17, 0x5040100
	v_perm_b32 v22, v16, v15, 0x5040100
	v_pack_b32_f16 v2, v2, v5
	ds_store_2addr_b32 v4, v1, v6 offset0:1 offset1:2
	ds_store_2addr_b32 v4, v7, v13 offset0:3 offset1:4
	;; [unrolled: 1-line block ×5, first 2 shown]
	ds_store_b32 v4, v2 offset:48
.LBB0_15:
	s_wait_alu 0xfffe
	s_or_b32 exec_lo, exec_lo, s1
	v_lshl_add_u32 v21, v14, 2, 0
	global_wb scope:SCOPE_SE
	s_wait_dscnt 0x0
	s_barrier_signal -1
	s_barrier_wait -1
	global_inv scope:SCOPE_SE
	v_add_nc_u32_e32 v0, 0x980, v21
	v_add_nc_u32_e32 v4, 0xf00, v21
	;; [unrolled: 1-line block ×4, first 2 shown]
	ds_load_2addr_b32 v[2:3], v21 offset1:156
	ds_load_2addr_b32 v[0:1], v0 offset0:16 offset1:250
	ds_load_2addr_b32 v[6:7], v4 offset0:54 offset1:210
	;; [unrolled: 1-line block ×4, first 2 shown]
	v_cmp_gt_u32_e64 s0, 0x4e, v14
	s_delay_alu instid0(VALU_DEP_1)
	s_and_saveexec_b32 s1, s0
	s_cbranch_execz .LBB0_17
; %bb.16:
	ds_load_b32 v15, v21 offset:3120
	ds_load_b32 v17, v21 offset:6552
	s_wait_dscnt 0x1
	v_lshrrev_b32_e32 v16, 16, v15
	s_wait_dscnt 0x0
	v_lshrrev_b32_e32 v18, 16, v17
.LBB0_17:
	s_wait_alu 0xfffe
	s_or_b32 exec_lo, exec_lo, s1
	v_and_b32_e32 v22, 0xff, v14
	v_add_nc_u32_e32 v25, 0x138, v14
	v_add_nc_u32_e32 v28, 0x30c, v14
	;; [unrolled: 1-line block ×4, first 2 shown]
	v_mul_lo_u16 v23, 0x4f, v22
	v_add_nc_u32_e32 v19, 0x9c, v14
	v_and_b32_e32 v24, 0xffff, v25
	v_and_b32_e32 v31, 0xffff, v28
	v_and_b32_e32 v29, 0xffff, v26
	v_lshrrev_b16 v30, 10, v23
	v_and_b32_e32 v32, 0xffff, v27
	v_and_b32_e32 v22, 0xffff, v19
	v_mul_u32_u24_e32 v33, 0x4ec5, v24
	v_mul_u32_u24_e32 v31, 0x4ec5, v31
	v_mul_lo_u16 v24, v30, 13
	v_mul_u32_u24_e32 v29, 0x4ec5, v29
	v_mul_u32_u24_e32 v32, 0x4ec5, v32
	;; [unrolled: 1-line block ×3, first 2 shown]
	v_and_b32_e32 v30, 0xffff, v30
	v_sub_nc_u16 v35, v14, v24
	v_lshrrev_b32_e32 v24, 18, v31
	v_lshrrev_b32_e32 v29, 18, v29
	;; [unrolled: 1-line block ×5, first 2 shown]
	v_and_b32_e32 v33, 0xff, v35
	v_mul_lo_u16 v35, v24, 13
	v_mul_lo_u16 v36, v29, 13
	;; [unrolled: 1-line block ×5, first 2 shown]
	v_sub_nc_u16 v28, v28, v35
	v_sub_nc_u16 v26, v26, v36
	;; [unrolled: 1-line block ×5, first 2 shown]
	v_and_b32_e32 v28, 0xffff, v28
	v_and_b32_e32 v26, 0xffff, v26
	v_and_b32_e32 v27, 0xffff, v27
	v_and_b32_e32 v36, 0xffff, v25
	v_and_b32_e32 v35, 0xffff, v35
	v_lshlrev_b32_e32 v25, 2, v28
	v_lshlrev_b32_e32 v26, 2, v26
	;; [unrolled: 1-line block ×6, first 2 shown]
	s_clause 0x5
	global_load_b32 v36, v25, s[8:9]
	global_load_b32 v37, v26, s[8:9]
	;; [unrolled: 1-line block ×6, first 2 shown]
	v_mul_u32_u24_e32 v30, 0x68, v30
	v_mul_u32_u24_e32 v34, 0x68, v34
	;; [unrolled: 1-line block ×5, first 2 shown]
	v_add3_u32 v28, 0, v30, v28
	v_add3_u32 v30, 0, v34, v35
	;; [unrolled: 1-line block ×5, first 2 shown]
	global_wb scope:SCOPE_SE
	s_wait_loadcnt_dscnt 0x0
	s_barrier_signal -1
	s_barrier_wait -1
	global_inv scope:SCOPE_SE
	v_lshrrev_b32_e32 v29, 16, v36
	v_pk_mul_f16 v31, v37, v12 op_sel:[0,1]
	v_pk_mul_f16 v33, v38, v13 op_sel:[0,1]
	;; [unrolled: 1-line block ×5, first 2 shown]
	v_mul_f16_e32 v43, v18, v29
	v_mul_f16_e32 v29, v17, v29
	v_pk_fma_f16 v44, v37, v12, v31 op_sel:[0,0,1] op_sel_hi:[1,0,0] neg_lo:[1,0,0] neg_hi:[1,0,0]
	v_pk_fma_f16 v12, v37, v12, v31 op_sel:[0,0,1] op_sel_hi:[1,0,0]
	v_pk_fma_f16 v31, v38, v13, v33 op_sel:[0,0,1] op_sel_hi:[1,0,0] neg_lo:[1,0,0] neg_hi:[1,0,0]
	v_pk_fma_f16 v13, v38, v13, v33 op_sel:[0,0,1] op_sel_hi:[1,0,0]
	v_pk_fma_f16 v33, v39, v7, v34 op_sel:[0,0,1] op_sel_hi:[1,1,0]
	v_pk_fma_f16 v7, v39, v7, v34 op_sel:[0,0,1] op_sel_hi:[1,0,0] neg_lo:[1,0,0] neg_hi:[1,0,0]
	v_pk_fma_f16 v34, v40, v6, v35 op_sel:[0,0,1] op_sel_hi:[1,1,0]
	v_pk_fma_f16 v6, v40, v6, v35 op_sel:[0,0,1] op_sel_hi:[1,0,0] neg_lo:[1,0,0] neg_hi:[1,0,0]
	v_pk_fma_f16 v35, v41, v1, v42 op_sel:[0,0,1] op_sel_hi:[1,1,0]
	v_pk_fma_f16 v1, v41, v1, v42 op_sel:[0,0,1] op_sel_hi:[1,0,0] neg_lo:[1,0,0] neg_hi:[1,0,0]
	v_fmac_f16_e32 v43, v17, v36
	v_fma_f16 v17, v18, v36, -v29
	v_bfi_b32 v12, 0xffff, v12, v44
	v_bfi_b32 v13, 0xffff, v13, v31
	;; [unrolled: 1-line block ×5, first 2 shown]
	v_pk_add_f16 v7, v5, v12 neg_lo:[0,1] neg_hi:[0,1]
	v_pk_add_f16 v12, v0, v13 neg_lo:[0,1] neg_hi:[0,1]
	v_sub_f16_e32 v6, v15, v43
	v_sub_f16_e32 v13, v16, v17
	v_pk_add_f16 v17, v2, v1 neg_lo:[0,1] neg_hi:[0,1]
	v_pk_add_f16 v29, v3, v29 neg_lo:[0,1] neg_hi:[0,1]
	;; [unrolled: 1-line block ×3, first 2 shown]
	v_pk_fma_f16 v1, v5, 2.0, v7 op_sel_hi:[1,0,1] neg_lo:[0,0,1] neg_hi:[0,0,1]
	v_fma_f16 v5, v15, 2.0, -v6
	v_pk_fma_f16 v15, v2, 2.0, v17 op_sel_hi:[1,0,1] neg_lo:[0,0,1] neg_hi:[0,0,1]
	v_fma_f16 v2, v16, 2.0, -v13
	v_pk_fma_f16 v0, v0, 2.0, v12 op_sel_hi:[1,0,1] neg_lo:[0,0,1] neg_hi:[0,0,1]
	v_pk_fma_f16 v3, v3, 2.0, v29 op_sel_hi:[1,0,1] neg_lo:[0,0,1] neg_hi:[0,0,1]
	;; [unrolled: 1-line block ×3, first 2 shown]
	ds_store_2addr_b32 v28, v15, v17 offset1:13
	ds_store_2addr_b32 v30, v3, v29 offset1:13
	;; [unrolled: 1-line block ×5, first 2 shown]
	s_and_saveexec_b32 s1, s0
	s_cbranch_execz .LBB0_19
; %bb.18:
	v_mul_lo_u16 v3, v24, 26
	v_perm_b32 v4, v2, v5, 0x5040100
	v_perm_b32 v15, v13, v6, 0x5040100
	s_delay_alu instid0(VALU_DEP_3) | instskip(NEXT) | instid1(VALU_DEP_1)
	v_and_b32_e32 v3, 0xffff, v3
	v_lshlrev_b32_e32 v3, 2, v3
	s_delay_alu instid0(VALU_DEP_1)
	v_add3_u32 v3, 0, v25, v3
	ds_store_2addr_b32 v3, v4, v15 offset1:13
.LBB0_19:
	s_wait_alu 0xfffe
	s_or_b32 exec_lo, exec_lo, s1
	global_wb scope:SCOPE_SE
	s_wait_dscnt 0x0
	s_barrier_signal -1
	s_barrier_wait -1
	global_inv scope:SCOPE_SE
	ds_load_b32 v15, v21
	ds_load_b32 v25, v21 offset:1144
	ds_load_b32 v24, v21 offset:2288
	;; [unrolled: 1-line block ×5, first 2 shown]
	v_cmp_gt_u32_e64 s0, 0x82, v14
	v_lshrrev_b32_e32 v3, 16, v7
	v_lshrrev_b32_e32 v4, 16, v0
	s_delay_alu instid0(VALU_DEP_3)
	s_and_saveexec_b32 s1, s0
	s_cbranch_execz .LBB0_21
; %bb.20:
	ds_load_b32 v5, v21 offset:5200
	ds_load_b32 v6, v21 offset:6344
	;; [unrolled: 1-line block ×6, first 2 shown]
	s_wait_dscnt 0x5
	v_lshrrev_b32_e32 v2, 16, v5
	s_wait_dscnt 0x4
	v_lshrrev_b32_e32 v13, 16, v6
	;; [unrolled: 2-line block ×4, first 2 shown]
.LBB0_21:
	s_wait_alu 0xfffe
	s_or_b32 exec_lo, exec_lo, s1
	v_lshrrev_b16 v23, 11, v23
	s_wait_dscnt 0x4
	v_lshrrev_b32_e32 v33, 16, v25
	s_wait_dscnt 0x2
	v_lshrrev_b32_e32 v35, 16, v18
	;; [unrolled: 2-line block ×3, first 2 shown]
	v_lshrrev_b32_e32 v34, 16, v24
	v_mul_lo_u16 v26, v23, 26
	v_and_b32_e32 v23, 0xffff, v23
	v_lshrrev_b32_e32 v36, 16, v17
	v_lshrrev_b32_e32 v32, 16, v15
	s_delay_alu instid0(VALU_DEP_4) | instskip(NEXT) | instid1(VALU_DEP_4)
	v_sub_nc_u16 v26, v14, v26
	v_mul_u32_u24_e32 v23, 0x270, v23
	s_delay_alu instid0(VALU_DEP_2) | instskip(NEXT) | instid1(VALU_DEP_1)
	v_and_b32_e32 v30, 0xff, v26
	v_mul_u32_u24_e32 v26, 5, v30
	v_lshlrev_b32_e32 v30, 2, v30
	s_delay_alu instid0(VALU_DEP_2) | instskip(NEXT) | instid1(VALU_DEP_2)
	v_lshlrev_b32_e32 v31, 2, v26
	v_add3_u32 v23, 0, v23, v30
	s_clause 0x1
	global_load_b128 v[26:29], v31, s[8:9] offset:52
	global_load_b32 v31, v31, s[8:9] offset:68
	global_wb scope:SCOPE_SE
	s_wait_loadcnt 0x0
	s_barrier_signal -1
	s_barrier_wait -1
	global_inv scope:SCOPE_SE
	v_lshrrev_b32_e32 v30, 16, v26
	v_lshrrev_b32_e32 v39, 16, v28
	;; [unrolled: 1-line block ×5, first 2 shown]
	v_mul_f16_e32 v42, v30, v33
	v_mul_f16_e32 v30, v30, v25
	v_mul_f16_e32 v44, v39, v35
	v_mul_f16_e32 v39, v39, v18
	v_mul_f16_e32 v46, v41, v37
	v_mul_f16_e32 v41, v41, v16
	v_mul_f16_e32 v43, v38, v34
	v_mul_f16_e32 v38, v38, v24
	v_mul_f16_e32 v45, v40, v36
	v_mul_f16_e32 v40, v40, v17
	v_fmac_f16_e32 v42, v26, v25
	v_fma_f16 v25, v26, v33, -v30
	v_fmac_f16_e32 v44, v28, v18
	v_fma_f16 v18, v28, v35, -v39
	;; [unrolled: 2-line block ×5, first 2 shown]
	v_sub_f16_e32 v34, v18, v16
	v_add_f16_e32 v35, v25, v18
	v_add_f16_e32 v18, v18, v16
	;; [unrolled: 1-line block ×4, first 2 shown]
	v_sub_f16_e32 v28, v24, v17
	v_add_f16_e32 v29, v32, v24
	v_add_f16_e32 v24, v24, v17
	;; [unrolled: 1-line block ×4, first 2 shown]
	v_sub_f16_e32 v36, v44, v46
	v_fmac_f16_e32 v25, -0.5, v18
	v_sub_f16_e32 v30, v43, v45
	v_add_f16_e32 v26, v26, v45
	v_fmac_f16_e32 v15, -0.5, v27
	v_add_f16_e32 v17, v29, v17
	v_fmac_f16_e32 v32, -0.5, v24
	;; [unrolled: 2-line block ×3, first 2 shown]
	v_fmamk_f16 v29, v36, 0x3aee, v25
	v_fmac_f16_e32 v25, 0xbaee, v36
	v_add_f16_e32 v16, v35, v16
	v_fmamk_f16 v18, v28, 0xbaee, v15
	v_fmac_f16_e32 v15, 0x3aee, v28
	v_fmamk_f16 v27, v30, 0x3aee, v32
	v_fmac_f16_e32 v32, 0xbaee, v30
	v_fmamk_f16 v28, v34, 0xbaee, v42
	v_add_f16_e32 v30, v26, v24
	v_sub_f16_e32 v24, v26, v24
	v_mul_f16_e32 v26, 0xbaee, v29
	v_mul_f16_e32 v29, 0.5, v29
	v_fmac_f16_e32 v42, 0x3aee, v34
	v_mul_f16_e32 v33, 0xbaee, v25
	v_mul_f16_e32 v25, -0.5, v25
	v_add_f16_e32 v31, v17, v16
	v_fmac_f16_e32 v26, 0.5, v28
	v_fmac_f16_e32 v29, 0x3aee, v28
	v_fmac_f16_e32 v33, -0.5, v42
	v_fmac_f16_e32 v25, 0x3aee, v42
	v_sub_f16_e32 v16, v17, v16
	v_pack_b32_f16 v17, v30, v31
	v_add_f16_e32 v28, v18, v26
	v_add_f16_e32 v31, v27, v29
	;; [unrolled: 1-line block ×4, first 2 shown]
	v_sub_f16_e32 v18, v18, v26
	v_sub_f16_e32 v15, v15, v33
	;; [unrolled: 1-line block ×4, first 2 shown]
	v_pack_b32_f16 v16, v24, v16
	v_pack_b32_f16 v24, v28, v31
	;; [unrolled: 1-line block ×5, first 2 shown]
	ds_store_2addr_b32 v23, v17, v24 offset1:26
	ds_store_2addr_b32 v23, v27, v16 offset0:52 offset1:78
	ds_store_2addr_b32 v23, v18, v15 offset0:104 offset1:130
	s_and_saveexec_b32 s1, s0
	s_cbranch_execz .LBB0_23
; %bb.22:
	v_lshrrev_b32_e32 v22, 19, v22
	v_lshrrev_b32_e32 v25, 16, v12
	;; [unrolled: 1-line block ×3, first 2 shown]
	s_delay_alu instid0(VALU_DEP_3) | instskip(SKIP_1) | instid1(VALU_DEP_2)
	v_mul_lo_u16 v15, v22, 26
	v_mul_lo_u16 v22, 0x9c, v22
	v_sub_nc_u16 v15, v19, v15
	s_delay_alu instid0(VALU_DEP_2) | instskip(NEXT) | instid1(VALU_DEP_2)
	v_and_b32_e32 v22, 0xffff, v22
	v_and_b32_e32 v19, 0xffff, v15
	s_delay_alu instid0(VALU_DEP_2) | instskip(NEXT) | instid1(VALU_DEP_2)
	v_lshlrev_b32_e32 v22, 2, v22
	v_mul_u32_u24_e32 v15, 5, v19
	v_lshlrev_b32_e32 v19, 2, v19
	s_delay_alu instid0(VALU_DEP_2) | instskip(NEXT) | instid1(VALU_DEP_2)
	v_lshlrev_b32_e32 v23, 2, v15
	v_add3_u32 v19, 0, v19, v22
	s_clause 0x1
	global_load_b128 v[15:18], v23, s[8:9] offset:52
	global_load_b32 v23, v23, s[8:9] offset:68
	s_wait_loadcnt 0x1
	v_lshrrev_b32_e32 v22, 16, v16
	v_lshrrev_b32_e32 v26, 16, v18
	;; [unrolled: 1-line block ×3, first 2 shown]
	s_wait_loadcnt 0x0
	v_lshrrev_b32_e32 v29, 16, v23
	v_lshrrev_b32_e32 v27, 16, v15
	v_mul_f16_e32 v30, v0, v22
	v_mul_f16_e32 v31, v5, v26
	;; [unrolled: 1-line block ×10, first 2 shown]
	v_fmac_f16_e32 v22, v0, v16
	v_fmac_f16_e32 v26, v5, v18
	v_fma_f16 v0, v25, v17, -v28
	v_fma_f16 v5, v13, v23, -v29
	v_fmac_f16_e32 v32, v7, v15
	v_fmac_f16_e32 v33, v12, v17
	;; [unrolled: 1-line block ×3, first 2 shown]
	v_fma_f16 v3, v3, v15, -v27
	v_add_f16_e32 v15, v0, v5
	v_fma_f16 v4, v4, v16, -v30
	v_fma_f16 v2, v2, v18, -v31
	v_sub_f16_e32 v7, v22, v26
	v_add_f16_e32 v12, v33, v34
	v_sub_f16_e32 v13, v0, v5
	v_sub_f16_e32 v16, v33, v34
	v_add_f16_e32 v0, v3, v0
	v_add_f16_e32 v18, v22, v26
	;; [unrolled: 1-line block ×3, first 2 shown]
	v_fma_f16 v3, -0.5, v15, v3
	v_add_f16_e32 v6, v4, v2
	v_add_f16_e32 v17, v24, v4
	;; [unrolled: 1-line block ×3, first 2 shown]
	v_fma_f16 v12, -0.5, v12, v32
	v_add_f16_e32 v0, v0, v5
	v_add_f16_e32 v5, v22, v26
	v_fmamk_f16 v22, v16, 0xbaee, v3
	v_fmac_f16_e32 v3, 0x3aee, v16
	v_sub_f16_e32 v4, v4, v2
	v_fma_f16 v6, -0.5, v6, v24
	v_add_f16_e32 v2, v17, v2
	v_fma_f16 v1, -0.5, v18, v1
	v_add_f16_e32 v15, v23, v34
	v_fmamk_f16 v18, v13, 0x3aee, v12
	v_fmac_f16_e32 v12, 0xbaee, v13
	v_mul_f16_e32 v16, 0.5, v3
	v_mul_f16_e32 v3, 0xbaee, v3
	v_fmamk_f16 v17, v7, 0xbaee, v6
	v_fmac_f16_e32 v6, 0x3aee, v7
	v_sub_f16_e32 v7, v2, v0
	v_fmamk_f16 v13, v4, 0x3aee, v1
	v_fmac_f16_e32 v1, 0xbaee, v4
	v_sub_f16_e32 v4, v5, v15
	v_add_f16_e32 v0, v2, v0
	v_mul_f16_e32 v2, -0.5, v22
	v_add_f16_e32 v5, v5, v15
	v_mul_f16_e32 v15, 0xbaee, v22
	v_fmac_f16_e32 v16, 0x3aee, v12
	v_fmac_f16_e32 v3, 0.5, v12
	v_fmac_f16_e32 v2, 0x3aee, v18
	v_pack_b32_f16 v0, v5, v0
	v_fmac_f16_e32 v15, -0.5, v18
	v_sub_f16_e32 v12, v6, v16
	v_add_f16_e32 v6, v6, v16
	v_add_f16_e32 v16, v1, v3
	v_sub_f16_e32 v5, v17, v2
	v_add_f16_e32 v2, v17, v2
	v_add_f16_e32 v17, v13, v15
	v_sub_f16_e32 v1, v1, v3
	v_sub_f16_e32 v3, v13, v15
	v_pack_b32_f16 v6, v16, v6
	v_pack_b32_f16 v4, v4, v7
	;; [unrolled: 1-line block ×5, first 2 shown]
	ds_store_2addr_b32 v19, v0, v6 offset1:26
	ds_store_2addr_b32 v19, v2, v4 offset0:52 offset1:78
	ds_store_2addr_b32 v19, v1, v3 offset0:104 offset1:130
.LBB0_23:
	s_wait_alu 0xfffe
	s_or_b32 exec_lo, exec_lo, s1
	global_wb scope:SCOPE_SE
	s_wait_dscnt 0x0
	s_barrier_signal -1
	s_barrier_wait -1
	global_inv scope:SCOPE_SE
	s_and_saveexec_b32 s0, vcc_lo
	s_cbranch_execz .LBB0_25
; %bb.24:
	v_mul_lo_u32 v23, s3, v10
	v_mul_lo_u32 v24, s2, v11
	v_mad_co_u64_u32 v[18:19], null, s2, v10, 0
	v_mad_co_u64_u32 v[16:17], null, s16, v20, 0
	v_mul_u32_u24_e32 v0, 10, v14
	v_add_nc_u32_e32 v33, 0x9c, v20
	v_add_nc_u32_e32 v25, 0x400, v21
	;; [unrolled: 1-line block ×3, first 2 shown]
	v_add3_u32 v19, v19, v24, v23
	v_lshlrev_b64_e32 v[8:9], 2, v[8:9]
	v_mad_co_u64_u32 v[12:13], null, s16, v33, 0
	s_delay_alu instid0(VALU_DEP_3) | instskip(NEXT) | instid1(VALU_DEP_1)
	v_lshlrev_b64_e32 v[18:19], 2, v[18:19]
	v_mad_co_u64_u32 v[31:32], null, s17, v20, v[17:18]
	s_delay_alu instid0(VALU_DEP_1)
	v_dual_mov_b32 v17, v31 :: v_dual_lshlrev_b32 v4, 2, v0
	s_clause 0x2
	global_load_b128 v[0:3], v4, s[8:9] offset:572
	global_load_b64 v[14:15], v4, s[8:9] offset:604
	global_load_b128 v[4:7], v4, s[8:9] offset:588
	ds_load_2addr_b32 v[10:11], v21 offset1:156
	ds_load_b32 v22, v21 offset:6240
	s_wait_loadcnt 0x2
	v_lshrrev_b32_e32 v41, 16, v0
	s_wait_loadcnt 0x1
	v_mad_co_u64_u32 v[32:33], null, s17, v33, v[13:14]
	v_add_nc_u32_e32 v26, 0x1200, v21
	v_add_nc_u32_e32 v21, 0xe00, v21
	ds_load_2addr_b32 v[27:28], v25 offset0:56 offset1:212
	ds_load_2addr_b32 v[25:26], v26 offset0:96 offset1:252
	;; [unrolled: 1-line block ×4, first 2 shown]
	v_add_co_u32 v13, vcc_lo, s6, v18
	s_wait_alu 0xfffd
	v_add_co_ci_u32_e32 v18, vcc_lo, s7, v19, vcc_lo
	s_wait_dscnt 0x5
	v_lshrrev_b32_e32 v19, 16, v11
	s_wait_dscnt 0x4
	v_lshrrev_b32_e32 v21, 16, v22
	v_lshrrev_b32_e32 v46, 16, v15
	;; [unrolled: 1-line block ×3, first 2 shown]
	s_wait_loadcnt 0x0
	v_lshrrev_b32_e32 v49, 16, v6
	v_mul_f16_e32 v51, v41, v19
	v_mul_f16_e32 v41, v41, v11
	;; [unrolled: 1-line block ×4, first 2 shown]
	v_lshrrev_b32_e32 v33, 16, v10
	v_lshrrev_b32_e32 v43, 16, v2
	;; [unrolled: 1-line block ×4, first 2 shown]
	s_wait_dscnt 0x3
	v_lshrrev_b32_e32 v31, 16, v27
	s_wait_dscnt 0x2
	v_lshrrev_b32_e32 v34, 16, v26
	;; [unrolled: 2-line block ×3, first 2 shown]
	v_lshrrev_b32_e32 v35, 16, v28
	v_lshrrev_b32_e32 v36, 16, v25
	;; [unrolled: 1-line block ×8, first 2 shown]
	v_mul_f16_e32 v53, v42, v31
	v_mul_f16_e32 v42, v42, v27
	;; [unrolled: 1-line block ×3, first 2 shown]
	v_fmac_f16_e32 v51, v0, v11
	v_fma_f16 v11, v15, v21, -v46
	v_fma_f16 v0, v0, v19, -v41
	v_mul_f16_e32 v54, v45, v34
	v_mul_f16_e32 v45, v26, v45
	;; [unrolled: 1-line block ×13, first 2 shown]
	v_fmac_f16_e32 v52, v15, v22
	v_fmac_f16_e32 v53, v1, v27
	v_fma_f16 v1, v1, v31, -v42
	v_fmac_f16_e32 v58, v6, v30
	v_add_f16_e32 v19, v0, v11
	v_sub_f16_e32 v30, v0, v11
	v_add_f16_e32 v0, v0, v33
	v_fmac_f16_e32 v54, v14, v26
	v_fma_f16 v14, v14, v34, -v45
	v_fmac_f16_e32 v55, v2, v28
	v_fmac_f16_e32 v56, v7, v25
	v_fma_f16 v7, v7, v36, -v50
	v_fma_f16 v2, v2, v35, -v43
	v_fmac_f16_e32 v57, v3, v23
	v_fma_f16 v6, v6, v38, -v49
	v_fma_f16 v3, v3, v37, -v44
	v_fmac_f16_e32 v59, v4, v24
	v_fmac_f16_e32 v60, v5, v29
	v_fma_f16 v5, v5, v40, -v48
	v_fma_f16 v4, v4, v39, -v47
	v_sub_f16_e32 v15, v51, v52
	v_add_f16_e32 v37, v51, v10
	v_add_f16_e32 v0, v0, v1
	v_sub_f16_e32 v21, v53, v54
	v_sub_f16_e32 v23, v55, v56
	;; [unrolled: 1-line block ×4, first 2 shown]
	v_add_f16_e32 v29, v51, v52
	v_sub_f16_e32 v34, v1, v14
	v_sub_f16_e32 v36, v2, v7
	;; [unrolled: 1-line block ×4, first 2 shown]
	v_mul_f16_e32 v42, 0xb853, v15
	v_mul_f16_e32 v47, 0xb853, v30
	;; [unrolled: 1-line block ×10, first 2 shown]
	v_add_f16_e32 v37, v37, v53
	v_add_f16_e32 v0, v0, v2
	;; [unrolled: 1-line block ×10, first 2 shown]
	v_mul_f16_e32 v43, 0xbb47, v21
	v_mul_f16_e32 v44, 0xbbeb, v23
	;; [unrolled: 1-line block ×40, first 2 shown]
	v_fmamk_f16 v89, v19, 0x3abb, v42
	v_fma_f16 v94, v29, 0x3abb, -v47
	v_fmamk_f16 v96, v19, 0x36a6, v50
	v_fma_f16 v101, v29, 0x36a6, -v64
	;; [unrolled: 2-line block ×4, first 2 shown]
	v_fma_f16 v117, v29, 0xbbad, -v30
	v_fmac_f16_e32 v30, 0xbbad, v29
	v_fmac_f16_e32 v80, 0xb93d, v29
	;; [unrolled: 1-line block ×5, first 2 shown]
	v_fmamk_f16 v119, v19, 0xbbad, v15
	v_fma_f16 v15, v19, 0xbbad, -v15
	v_fma_f16 v75, v19, 0xb93d, -v75
	;; [unrolled: 1-line block ×5, first 2 shown]
	v_add_f16_e32 v37, v37, v55
	v_add_f16_e32 v0, v0, v3
	v_fmamk_f16 v90, v22, 0x36a6, v43
	v_fmamk_f16 v91, v24, 0xb08e, v44
	v_fmamk_f16 v92, v26, 0xb93d, v45
	v_fmamk_f16 v93, v28, 0xbbad, v46
	v_fma_f16 v95, v31, 0x36a6, -v48
	v_fmamk_f16 v97, v22, 0xb93d, v51
	v_fmamk_f16 v98, v24, 0xbbad, v61
	v_fmamk_f16 v99, v26, 0xb08e, v62
	v_fmamk_f16 v100, v28, 0x3abb, v63
	v_fma_f16 v102, v31, 0xb93d, -v65
	v_fmamk_f16 v104, v22, 0xbbad, v68
	v_fmamk_f16 v105, v24, 0x36a6, v69
	v_fmamk_f16 v106, v26, 0x3abb, v70
	v_fmamk_f16 v107, v28, 0xb93d, v71
	v_fma_f16 v109, v31, 0xbbad, -v73
	v_fma_f16 v110, v35, 0x36a6, -v74
	v_fmamk_f16 v112, v22, 0xb08e, v76
	v_fmamk_f16 v113, v24, 0x3abb, v77
	;; [unrolled: 1-line block ×4, first 2 shown]
	v_fma_f16 v29, v31, 0xb08e, -v81
	v_fma_f16 v118, v35, 0x3abb, -v82
	v_fmamk_f16 v42, v22, 0x3abb, v21
	v_fma_f16 v21, v22, 0x3abb, -v21
	v_fma_f16 v76, v22, 0xb08e, -v76
	v_fma_f16 v68, v22, 0xbbad, -v68
	v_fma_f16 v51, v22, 0xb93d, -v51
	v_fma_f16 v22, v22, 0x36a6, -v43
	v_fmamk_f16 v43, v24, 0xb93d, v23
	v_fma_f16 v23, v24, 0xb93d, -v23
	v_fma_f16 v77, v24, 0x3abb, -v77
	v_fma_f16 v69, v24, 0x36a6, -v69
	;; [unrolled: 6-line block ×4, first 2 shown]
	v_fma_f16 v63, v28, 0x3abb, -v63
	v_fma_f16 v28, v28, 0xbbad, -v46
	;; [unrolled: 1-line block ×3, first 2 shown]
	v_fmac_f16_e32 v34, 0x3abb, v31
	v_fmac_f16_e32 v81, 0xb08e, v31
	;; [unrolled: 1-line block ×5, first 2 shown]
	v_fma_f16 v31, v35, 0xb93d, -v36
	v_fmac_f16_e32 v36, 0xb93d, v35
	v_fmac_f16_e32 v82, 0x3abb, v35
	;; [unrolled: 1-line block ×3, first 2 shown]
	v_fma_f16 v120, v35, 0xbbad, -v66
	v_fmac_f16_e32 v66, 0xbbad, v35
	v_fma_f16 v121, v35, 0xb08e, -v49
	v_fmac_f16_e32 v49, 0xb08e, v35
	;; [unrolled: 2-line block ×12, first 2 shown]
	v_add_f16_e32 v2, v94, v10
	v_add_f16_e32 v41, v101, v10
	v_add_f16_e32 v55, v108, v10
	v_add_f16_e32 v94, v116, v10
	v_add_f16_e32 v101, v117, v10
	v_add_f16_e32 v30, v30, v10
	v_add_f16_e32 v80, v80, v10
	v_add_f16_e32 v72, v72, v10
	v_add_f16_e32 v64, v64, v10
	v_add_f16_e32 v10, v47, v10
	v_add_f16_e32 v47, v89, v33
	v_add_f16_e32 v89, v96, v33
	v_add_f16_e32 v96, v103, v33
	v_add_f16_e32 v103, v111, v33
	v_add_f16_e32 v108, v119, v33
	v_add_f16_e32 v15, v15, v33
	v_add_f16_e32 v75, v75, v33
	v_add_f16_e32 v67, v67, v33
	v_add_f16_e32 v50, v50, v33
	v_add_f16_e32 v19, v19, v33
	v_add_f16_e32 v33, v37, v57
	v_add_f16_e32 v0, v0, v4
	v_add_f16_e32 v2, v2, v95
	v_add_f16_e32 v10, v10, v48
	v_add_f16_e32 v19, v19, v22
	v_add_f16_e32 v22, v33, v59
	v_add_f16_e32 v0, v0, v5
	v_add_f16_e32 v2, v2, v121
	v_add_f16_e32 v10, v10, v49
	v_add_f16_e32 v3, v47, v90
	v_add_f16_e32 v22, v22, v60
	v_add_f16_e32 v0, v6, v0
	v_add_f16_e32 v37, v89, v97
	v_add_f16_e32 v41, v41, v102
	v_add_f16_e32 v19, v19, v24
	v_add_f16_e32 v2, v2, v125
	v_add_f16_e32 v1, v10, v1
	v_add_f16_e32 v10, v58, v22
	v_add_f16_e32 v0, v7, v0
	v_add_f16_e32 v55, v55, v109
	v_add_f16_e32 v42, v108, v42
	v_add_f16_e32 v46, v101, v46
	v_add_f16_e32 v15, v15, v21
	v_add_f16_e32 v21, v30, v34
	v_add_f16_e32 v30, v75, v76
	v_add_f16_e32 v34, v80, v81
	v_add_f16_e32 v67, v67, v68
	v_add_f16_e32 v68, v72, v73
	v_add_f16_e32 v50, v50, v51
	v_add_f16_e32 v3, v3, v91
	v_add_f16_e32 v4, v37, v98
	v_add_f16_e32 v33, v41, v120
	v_add_f16_e32 v19, v19, v26
	v_add_f16_e64 v26, v2, v129
	v_add_f16_e32 v2, v56, v10
	v_add_f16_e32 v0, v14, v0
	;; [unrolled: 1-line block ×19, first 2 shown]
	v_add_nc_u32_e32 v10, 0x138, v20
	v_lshlrev_b64_e32 v[0:1], 2, v[16:17]
	v_add_nc_u32_e32 v16, 0x1d4, v20
	v_add_f16_e32 v33, v41, v123
	v_add_f16_e32 v41, v42, v44
	;; [unrolled: 1-line block ×10, first 2 shown]
	v_add_f16_e64 v42, v5, v128
	v_add_f16_e32 v6, v52, v2
	v_mad_co_u64_u32 v[2:3], null, s16, v10, 0
	v_mad_co_u64_u32 v[4:5], null, s16, v16, 0
	v_add_f16_e32 v15, v15, v27
	v_add_f16_e32 v27, v30, v71
	;; [unrolled: 1-line block ×4, first 2 shown]
	v_add_co_u32 v35, vcc_lo, v13, v8
	v_mov_b32_e32 v13, v32
	v_mad_co_u64_u32 v[10:11], null, s17, v10, v[3:4]
	v_pack_b32_f16 v17, v6, v7
	v_add_nc_u32_e32 v32, 0x270, v20
	s_delay_alu instid0(VALU_DEP_4)
	v_lshlrev_b64_e32 v[6:7], 2, v[12:13]
	s_wait_alu 0xfffd
	v_add_co_ci_u32_e32 v18, vcc_lo, v18, v9, vcc_lo
	v_add_co_u32 v0, vcc_lo, v35, v0
	v_mad_co_u64_u32 v[8:9], null, s16, v32, 0
	v_mov_b32_e32 v3, v10
	v_mad_co_u64_u32 v[11:12], null, s17, v16, v[5:6]
	v_add_f16_e32 v51, v64, v65
	s_wait_alu 0xfffd
	v_add_co_ci_u32_e32 v1, vcc_lo, v18, v1, vcc_lo
	v_mad_co_u64_u32 v[9:10], null, s17, v32, v[9:10]
	v_add_co_u32 v6, vcc_lo, v35, v6
	v_dual_mov_b32 v5, v11 :: v_dual_add_nc_u32 v10, 0x30c, v20
	v_add_f16_e32 v46, v51, v66
	s_wait_alu 0xfffd
	v_add_co_ci_u32_e32 v7, vcc_lo, v18, v7, vcc_lo
	v_pack_b32_f16 v12, v28, v19
	global_store_b32 v[0:1], v17, off
	v_lshlrev_b64_e32 v[0:1], 2, v[2:3]
	v_lshlrev_b64_e32 v[2:3], 2, v[4:5]
	v_mad_co_u64_u32 v[4:5], null, s16, v10, 0
	v_add_f16_e32 v23, v23, v78
	v_add_f16_e32 v36, v46, v84
	global_store_b32 v[6:7], v12, off
	v_lshlrev_b64_e32 v[6:7], 2, v[8:9]
	v_add_co_u32 v0, vcc_lo, v35, v0
	s_wait_alu 0xfffd
	v_add_co_ci_u32_e32 v1, vcc_lo, v18, v1, vcc_lo
	v_add_f16_e32 v23, v23, v79
	v_add_f16_e32 v25, v25, v88
	;; [unrolled: 1-line block ×3, first 2 shown]
	v_add_co_u32 v2, vcc_lo, v35, v2
	s_wait_alu 0xfffd
	v_add_co_ci_u32_e32 v3, vcc_lo, v18, v3, vcc_lo
	v_mad_co_u64_u32 v[8:9], null, s17, v10, v[5:6]
	v_add_co_u32 v6, vcc_lo, v35, v6
	v_pack_b32_f16 v11, v14, v34
	v_pack_b32_f16 v9, v30, v27
	s_wait_alu 0xfffd
	v_add_co_ci_u32_e32 v7, vcc_lo, v18, v7, vcc_lo
	v_pack_b32_f16 v10, v25, v23
	global_store_b32 v[0:1], v11, off
	v_mov_b32_e32 v5, v8
	global_store_b32 v[2:3], v9, off
	v_add_nc_u32_e32 v8, 0x3a8, v20
	global_store_b32 v[6:7], v10, off
	v_add_nc_u32_e32 v10, 0x444, v20
	v_lshlrev_b64_e32 v[0:1], 2, v[4:5]
	v_add_nc_u32_e32 v12, 0x4e0, v20
	v_mad_co_u64_u32 v[2:3], null, s16, v8, 0
	s_delay_alu instid0(VALU_DEP_4) | instskip(NEXT) | instid1(VALU_DEP_3)
	v_mad_co_u64_u32 v[4:5], null, s16, v10, 0
	v_mad_co_u64_u32 v[6:7], null, s16, v12, 0
	v_add_f16_e32 v21, v21, v83
	v_add_nc_u32_e32 v14, 0x57c, v20
	v_add_co_u32 v0, vcc_lo, v35, v0
	v_mad_co_u64_u32 v[8:9], null, s17, v8, v[3:4]
	s_delay_alu instid0(VALU_DEP_4)
	v_add_f16_e32 v21, v21, v40
	s_wait_alu 0xfffd
	v_add_co_ci_u32_e32 v1, vcc_lo, v18, v1, vcc_lo
	v_add_f16_e32 v47, v96, v104
	v_add_f16_e32 v57, v103, v112
	v_pack_b32_f16 v13, v21, v15
	v_mov_b32_e32 v3, v8
	v_mad_co_u64_u32 v[9:10], null, s17, v10, v[5:6]
	v_mov_b32_e32 v5, v7
	v_mad_co_u64_u32 v[10:11], null, s16, v14, 0
	global_store_b32 v[0:1], v13, off
	v_lshlrev_b64_e32 v[0:1], 2, v[2:3]
	v_mad_co_u64_u32 v[7:8], null, s17, v12, v[5:6]
	v_dual_mov_b32 v5, v9 :: v_dual_add_nc_u32 v12, 0x618, v20
	v_mov_b32_e32 v2, v11
	v_add_f16_e32 v29, v94, v29
	v_add_f16_e32 v37, v47, v105
	s_delay_alu instid0(VALU_DEP_4) | instskip(NEXT) | instid1(VALU_DEP_4)
	v_mad_co_u64_u32 v[8:9], null, s16, v12, 0
	v_mad_co_u64_u32 v[2:3], null, s17, v14, v[2:3]
	v_lshlrev_b64_e32 v[4:5], 2, v[4:5]
	v_add_f16_e32 v47, v57, v113
	v_add_f16_e32 v29, v29, v118
	v_add_co_u32 v0, vcc_lo, v35, v0
	v_mov_b32_e32 v3, v9
	v_mov_b32_e32 v11, v2
	s_wait_alu 0xfffd
	v_add_co_ci_u32_e32 v1, vcc_lo, v18, v1, vcc_lo
	v_lshlrev_b64_e32 v[6:7], 2, v[6:7]
	v_mad_co_u64_u32 v[12:13], null, s17, v12, v[3:4]
	v_add_f16_e32 v24, v37, v106
	v_add_f16_e32 v37, v47, v114
	;; [unrolled: 1-line block ×3, first 2 shown]
	v_add_co_u32 v2, vcc_lo, v35, v4
	s_wait_alu 0xfffd
	v_add_co_ci_u32_e32 v3, vcc_lo, v18, v5, vcc_lo
	v_mov_b32_e32 v9, v12
	v_lshlrev_b64_e32 v[4:5], 2, v[10:11]
	v_add_f16_e32 v41, v41, v45
	v_add_f16_e32 v31, v31, v39
	;; [unrolled: 1-line block ×4, first 2 shown]
	v_add_co_u32 v6, vcc_lo, v35, v6
	v_lshlrev_b64_e32 v[8:9], 2, v[8:9]
	v_add_f16_e32 v24, v24, v107
	v_add_f16_e32 v33, v33, v127
	s_wait_alu 0xfffd
	v_add_co_ci_u32_e32 v7, vcc_lo, v18, v7, vcc_lo
	v_add_co_u32 v4, vcc_lo, v35, v4
	v_pack_b32_f16 v14, v31, v41
	v_pack_b32_f16 v13, v29, v37
	s_wait_alu 0xfffd
	v_add_co_ci_u32_e32 v5, vcc_lo, v18, v5, vcc_lo
	v_pack_b32_f16 v10, v33, v24
	v_add_co_u32 v8, vcc_lo, v35, v8
	v_pack_b32_f16 v11, v42, v38
	s_wait_alu 0xfffd
	v_add_co_ci_u32_e32 v9, vcc_lo, v18, v9, vcc_lo
	v_pack_b32_f16 v12, v26, v22
	s_clause 0x4
	global_store_b32 v[0:1], v14, off
	global_store_b32 v[2:3], v13, off
	;; [unrolled: 1-line block ×5, first 2 shown]
.LBB0_25:
	s_nop 0
	s_sendmsg sendmsg(MSG_DEALLOC_VGPRS)
	s_endpgm
	.section	.rodata,"a",@progbits
	.p2align	6, 0x0
	.amdhsa_kernel fft_rtc_back_len1716_factors_13_2_6_11_wgs_156_tpt_156_half_op_CI_CI_sbrr_dirReg
		.amdhsa_group_segment_fixed_size 0
		.amdhsa_private_segment_fixed_size 0
		.amdhsa_kernarg_size 104
		.amdhsa_user_sgpr_count 2
		.amdhsa_user_sgpr_dispatch_ptr 0
		.amdhsa_user_sgpr_queue_ptr 0
		.amdhsa_user_sgpr_kernarg_segment_ptr 1
		.amdhsa_user_sgpr_dispatch_id 0
		.amdhsa_user_sgpr_private_segment_size 0
		.amdhsa_wavefront_size32 1
		.amdhsa_uses_dynamic_stack 0
		.amdhsa_enable_private_segment 0
		.amdhsa_system_sgpr_workgroup_id_x 1
		.amdhsa_system_sgpr_workgroup_id_y 0
		.amdhsa_system_sgpr_workgroup_id_z 0
		.amdhsa_system_sgpr_workgroup_info 0
		.amdhsa_system_vgpr_workitem_id 0
		.amdhsa_next_free_vgpr 130
		.amdhsa_next_free_sgpr 43
		.amdhsa_reserve_vcc 1
		.amdhsa_float_round_mode_32 0
		.amdhsa_float_round_mode_16_64 0
		.amdhsa_float_denorm_mode_32 3
		.amdhsa_float_denorm_mode_16_64 3
		.amdhsa_fp16_overflow 0
		.amdhsa_workgroup_processor_mode 1
		.amdhsa_memory_ordered 1
		.amdhsa_forward_progress 0
		.amdhsa_round_robin_scheduling 0
		.amdhsa_exception_fp_ieee_invalid_op 0
		.amdhsa_exception_fp_denorm_src 0
		.amdhsa_exception_fp_ieee_div_zero 0
		.amdhsa_exception_fp_ieee_overflow 0
		.amdhsa_exception_fp_ieee_underflow 0
		.amdhsa_exception_fp_ieee_inexact 0
		.amdhsa_exception_int_div_zero 0
	.end_amdhsa_kernel
	.text
.Lfunc_end0:
	.size	fft_rtc_back_len1716_factors_13_2_6_11_wgs_156_tpt_156_half_op_CI_CI_sbrr_dirReg, .Lfunc_end0-fft_rtc_back_len1716_factors_13_2_6_11_wgs_156_tpt_156_half_op_CI_CI_sbrr_dirReg
                                        ; -- End function
	.section	.AMDGPU.csdata,"",@progbits
; Kernel info:
; codeLenInByte = 11216
; NumSgprs: 45
; NumVgprs: 130
; ScratchSize: 0
; MemoryBound: 0
; FloatMode: 240
; IeeeMode: 1
; LDSByteSize: 0 bytes/workgroup (compile time only)
; SGPRBlocks: 5
; VGPRBlocks: 16
; NumSGPRsForWavesPerEU: 45
; NumVGPRsForWavesPerEU: 130
; Occupancy: 10
; WaveLimiterHint : 1
; COMPUTE_PGM_RSRC2:SCRATCH_EN: 0
; COMPUTE_PGM_RSRC2:USER_SGPR: 2
; COMPUTE_PGM_RSRC2:TRAP_HANDLER: 0
; COMPUTE_PGM_RSRC2:TGID_X_EN: 1
; COMPUTE_PGM_RSRC2:TGID_Y_EN: 0
; COMPUTE_PGM_RSRC2:TGID_Z_EN: 0
; COMPUTE_PGM_RSRC2:TIDIG_COMP_CNT: 0
	.text
	.p2alignl 7, 3214868480
	.fill 96, 4, 3214868480
	.type	__hip_cuid_a938b7190ad97a8e,@object ; @__hip_cuid_a938b7190ad97a8e
	.section	.bss,"aw",@nobits
	.globl	__hip_cuid_a938b7190ad97a8e
__hip_cuid_a938b7190ad97a8e:
	.byte	0                               ; 0x0
	.size	__hip_cuid_a938b7190ad97a8e, 1

	.ident	"AMD clang version 19.0.0git (https://github.com/RadeonOpenCompute/llvm-project roc-6.4.0 25133 c7fe45cf4b819c5991fe208aaa96edf142730f1d)"
	.section	".note.GNU-stack","",@progbits
	.addrsig
	.addrsig_sym __hip_cuid_a938b7190ad97a8e
	.amdgpu_metadata
---
amdhsa.kernels:
  - .args:
      - .actual_access:  read_only
        .address_space:  global
        .offset:         0
        .size:           8
        .value_kind:     global_buffer
      - .offset:         8
        .size:           8
        .value_kind:     by_value
      - .actual_access:  read_only
        .address_space:  global
        .offset:         16
        .size:           8
        .value_kind:     global_buffer
      - .actual_access:  read_only
        .address_space:  global
        .offset:         24
        .size:           8
        .value_kind:     global_buffer
      - .actual_access:  read_only
        .address_space:  global
        .offset:         32
        .size:           8
        .value_kind:     global_buffer
      - .offset:         40
        .size:           8
        .value_kind:     by_value
      - .actual_access:  read_only
        .address_space:  global
        .offset:         48
        .size:           8
        .value_kind:     global_buffer
      - .actual_access:  read_only
        .address_space:  global
        .offset:         56
        .size:           8
        .value_kind:     global_buffer
      - .offset:         64
        .size:           4
        .value_kind:     by_value
      - .actual_access:  read_only
        .address_space:  global
        .offset:         72
        .size:           8
        .value_kind:     global_buffer
      - .actual_access:  read_only
        .address_space:  global
        .offset:         80
        .size:           8
        .value_kind:     global_buffer
      - .actual_access:  read_only
        .address_space:  global
        .offset:         88
        .size:           8
        .value_kind:     global_buffer
      - .actual_access:  write_only
        .address_space:  global
        .offset:         96
        .size:           8
        .value_kind:     global_buffer
    .group_segment_fixed_size: 0
    .kernarg_segment_align: 8
    .kernarg_segment_size: 104
    .language:       OpenCL C
    .language_version:
      - 2
      - 0
    .max_flat_workgroup_size: 156
    .name:           fft_rtc_back_len1716_factors_13_2_6_11_wgs_156_tpt_156_half_op_CI_CI_sbrr_dirReg
    .private_segment_fixed_size: 0
    .sgpr_count:     45
    .sgpr_spill_count: 0
    .symbol:         fft_rtc_back_len1716_factors_13_2_6_11_wgs_156_tpt_156_half_op_CI_CI_sbrr_dirReg.kd
    .uniform_work_group_size: 1
    .uses_dynamic_stack: false
    .vgpr_count:     130
    .vgpr_spill_count: 0
    .wavefront_size: 32
    .workgroup_processor_mode: 1
amdhsa.target:   amdgcn-amd-amdhsa--gfx1201
amdhsa.version:
  - 1
  - 2
...

	.end_amdgpu_metadata
